;; amdgpu-corpus repo=pytorch/pytorch kind=compiled arch=gfx906 opt=O3
	.amdgcn_target "amdgcn-amd-amdhsa--gfx906"
	.amdhsa_code_object_version 6
	.section	.text._ZN2at6native12_GLOBAL__N_131replication_pad_backward_kernelIdEEvN5torch10headeronly6detail27GenericPackedTensorAccessorINS5_14TensorAccessorIN3c108ArrayRefIlEET_Lm3ENS4_16DefaultPtrTraitsElEENS_6detail16IndexBoundsCheckILm4ElEESB_Lm4ESC_lEENS6_INS7_ISA_KSB_Lm3ESC_lEESG_SI_Lm4ESC_lEEiiii,"axG",@progbits,_ZN2at6native12_GLOBAL__N_131replication_pad_backward_kernelIdEEvN5torch10headeronly6detail27GenericPackedTensorAccessorINS5_14TensorAccessorIN3c108ArrayRefIlEET_Lm3ENS4_16DefaultPtrTraitsElEENS_6detail16IndexBoundsCheckILm4ElEESB_Lm4ESC_lEENS6_INS7_ISA_KSB_Lm3ESC_lEESG_SI_Lm4ESC_lEEiiii,comdat
	.globl	_ZN2at6native12_GLOBAL__N_131replication_pad_backward_kernelIdEEvN5torch10headeronly6detail27GenericPackedTensorAccessorINS5_14TensorAccessorIN3c108ArrayRefIlEET_Lm3ENS4_16DefaultPtrTraitsElEENS_6detail16IndexBoundsCheckILm4ElEESB_Lm4ESC_lEENS6_INS7_ISA_KSB_Lm3ESC_lEESG_SI_Lm4ESC_lEEiiii ; -- Begin function _ZN2at6native12_GLOBAL__N_131replication_pad_backward_kernelIdEEvN5torch10headeronly6detail27GenericPackedTensorAccessorINS5_14TensorAccessorIN3c108ArrayRefIlEET_Lm3ENS4_16DefaultPtrTraitsElEENS_6detail16IndexBoundsCheckILm4ElEESB_Lm4ESC_lEENS6_INS7_ISA_KSB_Lm3ESC_lEESG_SI_Lm4ESC_lEEiiii
	.p2align	8
	.type	_ZN2at6native12_GLOBAL__N_131replication_pad_backward_kernelIdEEvN5torch10headeronly6detail27GenericPackedTensorAccessorINS5_14TensorAccessorIN3c108ArrayRefIlEET_Lm3ENS4_16DefaultPtrTraitsElEENS_6detail16IndexBoundsCheckILm4ElEESB_Lm4ESC_lEENS6_INS7_ISA_KSB_Lm3ESC_lEESG_SI_Lm4ESC_lEEiiii,@function
_ZN2at6native12_GLOBAL__N_131replication_pad_backward_kernelIdEEvN5torch10headeronly6detail27GenericPackedTensorAccessorINS5_14TensorAccessorIN3c108ArrayRefIlEET_Lm3ENS4_16DefaultPtrTraitsElEENS_6detail16IndexBoundsCheckILm4ElEESB_Lm4ESC_lEENS6_INS7_ISA_KSB_Lm3ESC_lEESG_SI_Lm4ESC_lEEiiii: ; @_ZN2at6native12_GLOBAL__N_131replication_pad_backward_kernelIdEEvN5torch10headeronly6detail27GenericPackedTensorAccessorINS5_14TensorAccessorIN3c108ArrayRefIlEET_Lm3ENS4_16DefaultPtrTraitsElEENS_6detail16IndexBoundsCheckILm4ElEESB_Lm4ESC_lEENS6_INS7_ISA_KSB_Lm3ESC_lEESG_SI_Lm4ESC_lEEiiii
; %bb.0:
	s_load_dword s9, s[4:5], 0xac
	s_load_dwordx4 s[0:3], s[4:5], 0x60
	s_waitcnt lgkmcnt(0)
	s_and_b32 s9, s9, 0xffff
	s_mul_i32 s6, s6, s9
	v_add_u32_e32 v0, s6, v0
	s_mul_i32 s1, s2, s1
	s_mul_hi_u32 s6, s2, s0
	s_add_i32 s1, s6, s1
	s_mul_i32 s6, s3, s0
	v_ashrrev_i32_e32 v1, 31, v0
	s_add_i32 s1, s1, s6
	s_mul_i32 s0, s2, s0
	v_cmp_gt_i64_e32 vcc, s[0:1], v[0:1]
	s_and_saveexec_b64 s[0:1], vcc
	s_cbranch_execz .LBB0_7
; %bb.1:
	v_or_b32_e32 v3, s3, v1
	v_mov_b32_e32 v2, 0
	v_cmp_ne_u64_e32 vcc, 0, v[2:3]
                                        ; implicit-def: $vgpr2_vgpr3
	s_and_saveexec_b64 s[0:1], vcc
	s_xor_b64 s[10:11], exec, s[0:1]
	s_cbranch_execz .LBB0_3
; %bb.2:
	s_ashr_i32 s12, s3, 31
	s_add_u32 s0, s2, s12
	s_mov_b32 s13, s12
	s_addc_u32 s1, s3, s12
	s_xor_b64 s[14:15], s[0:1], s[12:13]
	v_cvt_f32_u32_e32 v2, s14
	v_cvt_f32_u32_e32 v3, s15
	s_sub_u32 s6, 0, s14
	s_subb_u32 s9, 0, s15
	v_ashrrev_i32_e32 v6, 31, v1
	v_madmk_f32 v2, v3, 0x4f800000, v2
	v_rcp_f32_e32 v2, v2
	v_mul_f32_e32 v2, 0x5f7ffffc, v2
	v_mul_f32_e32 v3, 0x2f800000, v2
	v_trunc_f32_e32 v3, v3
	v_madmk_f32 v2, v3, 0xcf800000, v2
	v_cvt_u32_f32_e32 v3, v3
	v_cvt_u32_f32_e32 v2, v2
	v_readfirstlane_b32 s13, v3
	v_readfirstlane_b32 s0, v2
	s_mul_i32 s1, s6, s13
	s_mul_hi_u32 s17, s6, s0
	s_mul_i32 s16, s9, s0
	s_add_i32 s1, s17, s1
	s_add_i32 s1, s1, s16
	s_mul_i32 s18, s6, s0
	s_mul_i32 s17, s0, s1
	s_mul_hi_u32 s19, s0, s18
	s_mul_hi_u32 s16, s0, s1
	s_add_u32 s17, s19, s17
	s_addc_u32 s16, 0, s16
	s_mul_hi_u32 s20, s13, s18
	s_mul_i32 s18, s13, s18
	s_add_u32 s17, s17, s18
	s_mul_hi_u32 s19, s13, s1
	s_addc_u32 s16, s16, s20
	s_addc_u32 s17, s19, 0
	s_mul_i32 s1, s13, s1
	s_add_u32 s1, s16, s1
	s_addc_u32 s16, 0, s17
	s_add_u32 s17, s0, s1
	s_cselect_b64 s[0:1], -1, 0
	s_cmp_lg_u64 s[0:1], 0
	s_addc_u32 s13, s13, s16
	s_mul_i32 s0, s6, s13
	s_mul_hi_u32 s1, s6, s17
	s_add_i32 s0, s1, s0
	s_mul_i32 s9, s9, s17
	s_add_i32 s0, s0, s9
	s_mul_i32 s6, s6, s17
	s_mul_hi_u32 s9, s13, s6
	s_mul_i32 s16, s13, s6
	s_mul_i32 s19, s17, s0
	s_mul_hi_u32 s6, s17, s6
	s_mul_hi_u32 s18, s17, s0
	s_add_u32 s6, s6, s19
	s_addc_u32 s18, 0, s18
	s_add_u32 s6, s6, s16
	s_mul_hi_u32 s1, s13, s0
	s_addc_u32 s6, s18, s9
	s_addc_u32 s1, s1, 0
	s_mul_i32 s0, s13, s0
	s_add_u32 s0, s6, s0
	s_addc_u32 s6, 0, s1
	s_add_u32 s9, s17, s0
	s_cselect_b64 s[0:1], -1, 0
	s_cmp_lg_u64 s[0:1], 0
	v_add_co_u32_e32 v2, vcc, v0, v6
	s_addc_u32 s6, s13, s6
	v_xor_b32_e32 v7, v2, v6
	v_mad_u64_u32 v[2:3], s[0:1], v7, s6, 0
	v_mul_hi_u32 v5, v7, s9
	v_addc_co_u32_e32 v4, vcc, v1, v6, vcc
	v_xor_b32_e32 v8, v4, v6
	v_add_co_u32_e32 v9, vcc, v5, v2
	v_addc_co_u32_e32 v10, vcc, 0, v3, vcc
	v_mad_u64_u32 v[2:3], s[0:1], v8, s9, 0
	v_mad_u64_u32 v[4:5], s[0:1], v8, s6, 0
	v_add_co_u32_e32 v2, vcc, v9, v2
	v_addc_co_u32_e32 v2, vcc, v10, v3, vcc
	v_addc_co_u32_e32 v3, vcc, 0, v5, vcc
	v_add_co_u32_e32 v4, vcc, v2, v4
	v_addc_co_u32_e32 v5, vcc, 0, v3, vcc
	v_mul_lo_u32 v9, s15, v4
	v_mul_lo_u32 v10, s14, v5
	v_mad_u64_u32 v[2:3], s[0:1], s14, v4, 0
	v_add3_u32 v3, v3, v10, v9
	v_sub_u32_e32 v9, v8, v3
	v_mov_b32_e32 v10, s15
	v_sub_co_u32_e32 v2, vcc, v7, v2
	v_subb_co_u32_e64 v7, s[0:1], v9, v10, vcc
	v_subrev_co_u32_e64 v9, s[0:1], s14, v2
	v_subbrev_co_u32_e64 v7, s[0:1], 0, v7, s[0:1]
	v_cmp_le_u32_e64 s[0:1], s15, v7
	v_cndmask_b32_e64 v10, 0, -1, s[0:1]
	v_cmp_le_u32_e64 s[0:1], s14, v9
	v_cndmask_b32_e64 v9, 0, -1, s[0:1]
	v_cmp_eq_u32_e64 s[0:1], s15, v7
	v_cndmask_b32_e64 v7, v10, v9, s[0:1]
	v_add_co_u32_e64 v9, s[0:1], 2, v4
	v_subb_co_u32_e32 v3, vcc, v8, v3, vcc
	v_addc_co_u32_e64 v10, s[0:1], 0, v5, s[0:1]
	v_cmp_le_u32_e32 vcc, s15, v3
	v_add_co_u32_e64 v11, s[0:1], 1, v4
	v_cndmask_b32_e64 v8, 0, -1, vcc
	v_cmp_le_u32_e32 vcc, s14, v2
	v_addc_co_u32_e64 v12, s[0:1], 0, v5, s[0:1]
	v_cndmask_b32_e64 v2, 0, -1, vcc
	v_cmp_eq_u32_e32 vcc, s15, v3
	v_cmp_ne_u32_e64 s[0:1], 0, v7
	v_cndmask_b32_e32 v2, v8, v2, vcc
	v_cndmask_b32_e64 v7, v12, v10, s[0:1]
	v_cmp_ne_u32_e32 vcc, 0, v2
	v_cndmask_b32_e64 v3, v11, v9, s[0:1]
	v_cndmask_b32_e32 v2, v5, v7, vcc
	v_cndmask_b32_e32 v3, v4, v3, vcc
	v_xor_b32_e32 v4, s12, v6
	v_xor_b32_e32 v5, v2, v4
	;; [unrolled: 1-line block ×3, first 2 shown]
	v_sub_co_u32_e32 v2, vcc, v2, v4
	v_subb_co_u32_e32 v3, vcc, v5, v4, vcc
.LBB0_3:
	s_andn2_saveexec_b64 s[0:1], s[10:11]
	s_cbranch_execz .LBB0_5
; %bb.4:
	v_cvt_f32_u32_e32 v2, s2
	s_sub_i32 s6, 0, s2
	v_rcp_iflag_f32_e32 v2, v2
	v_mul_f32_e32 v2, 0x4f7ffffe, v2
	v_cvt_u32_f32_e32 v2, v2
	v_mul_lo_u32 v3, s6, v2
	v_mul_hi_u32 v3, v2, v3
	v_add_u32_e32 v2, v2, v3
	v_mul_hi_u32 v2, v0, v2
	v_mul_lo_u32 v3, v2, s2
	v_add_u32_e32 v4, 1, v2
	v_sub_u32_e32 v3, v0, v3
	v_subrev_u32_e32 v5, s2, v3
	v_cmp_le_u32_e32 vcc, s2, v3
	v_cndmask_b32_e32 v3, v3, v5, vcc
	v_cndmask_b32_e32 v2, v2, v4, vcc
	v_add_u32_e32 v4, 1, v2
	v_cmp_le_u32_e32 vcc, s2, v3
	v_cndmask_b32_e32 v2, v2, v4, vcc
	v_mov_b32_e32 v3, 0
.LBB0_5:
	s_or_b64 exec, exec, s[0:1]
	s_load_dwordx4 s[16:19], s[4:5], 0x90
	v_mul_lo_u32 v5, v3, s2
	v_mad_u64_u32 v[3:4], s[0:1], v2, s2, 0
	v_mul_lo_u32 v6, v2, s3
	s_waitcnt lgkmcnt(0)
	s_add_i32 s26, s19, s8
	s_load_dwordx8 s[8:15], s[4:5], 0x18
	v_sub_co_u32_e32 v3, vcc, v0, v3
	s_sub_i32 s0, 0, s17
	s_add_i32 s27, s18, s7
	s_waitcnt lgkmcnt(0)
	s_add_i32 s9, s17, s10
	s_max_i32 s18, s0, 0
	s_max_i32 s19, s17, 0
	v_max_i32_e32 v0, s17, v3
	s_add_i32 s9, s9, -1
	v_min_i32_e32 v0, s9, v0
	s_sub_i32 s9, s18, s19
	v_add3_u32 v4, v4, v6, v5
	s_sub_i32 s0, 0, s16
	s_max_i32 s29, s16, 0
	v_add_u32_e32 v6, s9, v0
	v_max_i32_e32 v0, s16, v2
	s_add_i32 s8, s16, s8
	s_load_dwordx8 s[16:23], s[4:5], 0x70
	s_max_i32 s28, s0, 0
	s_add_i32 s8, s8, -1
	s_load_dwordx2 s[6:7], s[4:5], 0x0
	s_load_dwordx2 s[24:25], s[4:5], 0x48
	s_load_dwordx4 s[0:3], s[4:5], 0x38
	v_min_i32_e32 v0, s8, v0
	s_sub_i32 s4, s28, s29
	s_ashr_i32 s10, s26, 31
	v_add_u32_e32 v7, s4, v0
	s_waitcnt lgkmcnt(0)
	s_mul_i32 s4, s16, s10
	s_mul_hi_u32 s5, s16, s26
	s_add_i32 s4, s5, s4
	s_mul_i32 s5, s17, s26
	s_add_i32 s5, s4, s5
	s_mul_i32 s4, s16, s26
	s_lshl_b64 s[4:5], s[4:5], 3
	s_add_u32 s11, s24, s4
	s_addc_u32 s16, s25, s5
	s_ashr_i32 s17, s27, 31
	s_mul_i32 s4, s18, s17
	s_mul_hi_u32 s5, s18, s27
	s_add_i32 s4, s5, s4
	s_mul_i32 s5, s19, s27
	v_ashrrev_i32_e32 v0, 31, v2
	v_subb_co_u32_e32 v4, vcc, v1, v4, vcc
	s_add_i32 s5, s4, s5
	s_mul_i32 s4, s18, s27
	v_mul_lo_u32 v5, s21, v2
	v_mul_lo_u32 v8, s20, v0
	v_mad_u64_u32 v[0:1], s[8:9], s20, v2, 0
	s_lshl_b64 s[4:5], s[4:5], 3
	s_add_u32 s8, s11, s4
	s_addc_u32 s4, s16, s5
	v_add3_u32 v1, v1, v8, v5
	v_mov_b32_e32 v5, s4
	v_mul_lo_u32 v8, s23, v3
	v_mul_lo_u32 v4, s22, v4
	v_mad_u64_u32 v[2:3], s[4:5], s22, v3, 0
	v_lshlrev_b64 v[0:1], 3, v[0:1]
	s_mul_i32 s4, s12, s10
	v_add_co_u32_e32 v9, vcc, s8, v0
	v_add3_u32 v3, v3, v4, v8
	s_mul_hi_u32 s5, s12, s26
	v_addc_co_u32_e32 v5, vcc, v5, v1, vcc
	v_lshlrev_b64 v[0:1], 3, v[2:3]
	s_add_i32 s4, s5, s4
	s_mul_i32 s5, s13, s26
	s_add_i32 s5, s4, s5
	s_mul_i32 s4, s12, s26
	v_add_co_u32_e32 v0, vcc, v9, v0
	s_lshl_b64 s[4:5], s[4:5], 3
	v_addc_co_u32_e32 v1, vcc, v5, v1, vcc
	s_add_u32 s6, s6, s4
	global_load_dwordx2 v[4:5], v[0:1], off
	s_addc_u32 s7, s7, s5
	s_mul_i32 s4, s14, s17
	s_mul_hi_u32 s5, s14, s27
	v_ashrrev_i32_e32 v0, 31, v7
	s_add_i32 s4, s5, s4
	s_mul_i32 s5, s15, s27
	v_mul_lo_u32 v2, s0, v0
	v_mul_lo_u32 v3, s1, v7
	v_mad_u64_u32 v[0:1], s[0:1], s0, v7, 0
	s_add_i32 s5, s4, s5
	s_mul_i32 s4, s14, s27
	s_lshl_b64 s[0:1], s[4:5], 3
	s_add_u32 s4, s6, s0
	s_addc_u32 s0, s7, s1
	v_add3_u32 v1, v1, v2, v3
	v_ashrrev_i32_e32 v2, 31, v6
	v_mov_b32_e32 v7, s0
	v_mul_lo_u32 v8, s2, v2
	v_mul_lo_u32 v9, s3, v6
	v_mad_u64_u32 v[2:3], s[0:1], s2, v6, 0
	v_lshlrev_b64 v[0:1], 3, v[0:1]
	s_mov_b64 s[0:1], 0
	v_add_co_u32_e32 v6, vcc, s4, v0
	v_add3_u32 v3, v3, v8, v9
	v_addc_co_u32_e32 v7, vcc, v7, v1, vcc
	v_lshlrev_b64 v[0:1], 3, v[2:3]
	v_add_co_u32_e32 v6, vcc, v6, v0
	v_addc_co_u32_e32 v7, vcc, v7, v1, vcc
	global_load_dwordx2 v[2:3], v[6:7], off
.LBB0_6:                                ; =>This Inner Loop Header: Depth=1
	s_waitcnt vmcnt(0)
	v_add_f64 v[0:1], v[2:3], v[4:5]
	global_atomic_cmpswap_x2 v[0:1], v[6:7], v[0:3], off glc
	s_waitcnt vmcnt(0)
	v_cmp_eq_u64_e32 vcc, v[0:1], v[2:3]
	v_mov_b32_e32 v3, v1
	s_or_b64 s[0:1], vcc, s[0:1]
	v_mov_b32_e32 v2, v0
	s_andn2_b64 exec, exec, s[0:1]
	s_cbranch_execnz .LBB0_6
.LBB0_7:
	s_endpgm
	.section	.rodata,"a",@progbits
	.p2align	6, 0x0
	.amdhsa_kernel _ZN2at6native12_GLOBAL__N_131replication_pad_backward_kernelIdEEvN5torch10headeronly6detail27GenericPackedTensorAccessorINS5_14TensorAccessorIN3c108ArrayRefIlEET_Lm3ENS4_16DefaultPtrTraitsElEENS_6detail16IndexBoundsCheckILm4ElEESB_Lm4ESC_lEENS6_INS7_ISA_KSB_Lm3ESC_lEESG_SI_Lm4ESC_lEEiiii
		.amdhsa_group_segment_fixed_size 0
		.amdhsa_private_segment_fixed_size 0
		.amdhsa_kernarg_size 416
		.amdhsa_user_sgpr_count 6
		.amdhsa_user_sgpr_private_segment_buffer 1
		.amdhsa_user_sgpr_dispatch_ptr 0
		.amdhsa_user_sgpr_queue_ptr 0
		.amdhsa_user_sgpr_kernarg_segment_ptr 1
		.amdhsa_user_sgpr_dispatch_id 0
		.amdhsa_user_sgpr_flat_scratch_init 0
		.amdhsa_user_sgpr_private_segment_size 0
		.amdhsa_uses_dynamic_stack 0
		.amdhsa_system_sgpr_private_segment_wavefront_offset 0
		.amdhsa_system_sgpr_workgroup_id_x 1
		.amdhsa_system_sgpr_workgroup_id_y 1
		.amdhsa_system_sgpr_workgroup_id_z 1
		.amdhsa_system_sgpr_workgroup_info 0
		.amdhsa_system_vgpr_workitem_id 0
		.amdhsa_next_free_vgpr 13
		.amdhsa_next_free_sgpr 30
		.amdhsa_reserve_vcc 1
		.amdhsa_reserve_flat_scratch 0
		.amdhsa_float_round_mode_32 0
		.amdhsa_float_round_mode_16_64 0
		.amdhsa_float_denorm_mode_32 3
		.amdhsa_float_denorm_mode_16_64 3
		.amdhsa_dx10_clamp 1
		.amdhsa_ieee_mode 1
		.amdhsa_fp16_overflow 0
		.amdhsa_exception_fp_ieee_invalid_op 0
		.amdhsa_exception_fp_denorm_src 0
		.amdhsa_exception_fp_ieee_div_zero 0
		.amdhsa_exception_fp_ieee_overflow 0
		.amdhsa_exception_fp_ieee_underflow 0
		.amdhsa_exception_fp_ieee_inexact 0
		.amdhsa_exception_int_div_zero 0
	.end_amdhsa_kernel
	.section	.text._ZN2at6native12_GLOBAL__N_131replication_pad_backward_kernelIdEEvN5torch10headeronly6detail27GenericPackedTensorAccessorINS5_14TensorAccessorIN3c108ArrayRefIlEET_Lm3ENS4_16DefaultPtrTraitsElEENS_6detail16IndexBoundsCheckILm4ElEESB_Lm4ESC_lEENS6_INS7_ISA_KSB_Lm3ESC_lEESG_SI_Lm4ESC_lEEiiii,"axG",@progbits,_ZN2at6native12_GLOBAL__N_131replication_pad_backward_kernelIdEEvN5torch10headeronly6detail27GenericPackedTensorAccessorINS5_14TensorAccessorIN3c108ArrayRefIlEET_Lm3ENS4_16DefaultPtrTraitsElEENS_6detail16IndexBoundsCheckILm4ElEESB_Lm4ESC_lEENS6_INS7_ISA_KSB_Lm3ESC_lEESG_SI_Lm4ESC_lEEiiii,comdat
.Lfunc_end0:
	.size	_ZN2at6native12_GLOBAL__N_131replication_pad_backward_kernelIdEEvN5torch10headeronly6detail27GenericPackedTensorAccessorINS5_14TensorAccessorIN3c108ArrayRefIlEET_Lm3ENS4_16DefaultPtrTraitsElEENS_6detail16IndexBoundsCheckILm4ElEESB_Lm4ESC_lEENS6_INS7_ISA_KSB_Lm3ESC_lEESG_SI_Lm4ESC_lEEiiii, .Lfunc_end0-_ZN2at6native12_GLOBAL__N_131replication_pad_backward_kernelIdEEvN5torch10headeronly6detail27GenericPackedTensorAccessorINS5_14TensorAccessorIN3c108ArrayRefIlEET_Lm3ENS4_16DefaultPtrTraitsElEENS_6detail16IndexBoundsCheckILm4ElEESB_Lm4ESC_lEENS6_INS7_ISA_KSB_Lm3ESC_lEESG_SI_Lm4ESC_lEEiiii
                                        ; -- End function
	.set _ZN2at6native12_GLOBAL__N_131replication_pad_backward_kernelIdEEvN5torch10headeronly6detail27GenericPackedTensorAccessorINS5_14TensorAccessorIN3c108ArrayRefIlEET_Lm3ENS4_16DefaultPtrTraitsElEENS_6detail16IndexBoundsCheckILm4ElEESB_Lm4ESC_lEENS6_INS7_ISA_KSB_Lm3ESC_lEESG_SI_Lm4ESC_lEEiiii.num_vgpr, 13
	.set _ZN2at6native12_GLOBAL__N_131replication_pad_backward_kernelIdEEvN5torch10headeronly6detail27GenericPackedTensorAccessorINS5_14TensorAccessorIN3c108ArrayRefIlEET_Lm3ENS4_16DefaultPtrTraitsElEENS_6detail16IndexBoundsCheckILm4ElEESB_Lm4ESC_lEENS6_INS7_ISA_KSB_Lm3ESC_lEESG_SI_Lm4ESC_lEEiiii.num_agpr, 0
	.set _ZN2at6native12_GLOBAL__N_131replication_pad_backward_kernelIdEEvN5torch10headeronly6detail27GenericPackedTensorAccessorINS5_14TensorAccessorIN3c108ArrayRefIlEET_Lm3ENS4_16DefaultPtrTraitsElEENS_6detail16IndexBoundsCheckILm4ElEESB_Lm4ESC_lEENS6_INS7_ISA_KSB_Lm3ESC_lEESG_SI_Lm4ESC_lEEiiii.numbered_sgpr, 30
	.set _ZN2at6native12_GLOBAL__N_131replication_pad_backward_kernelIdEEvN5torch10headeronly6detail27GenericPackedTensorAccessorINS5_14TensorAccessorIN3c108ArrayRefIlEET_Lm3ENS4_16DefaultPtrTraitsElEENS_6detail16IndexBoundsCheckILm4ElEESB_Lm4ESC_lEENS6_INS7_ISA_KSB_Lm3ESC_lEESG_SI_Lm4ESC_lEEiiii.num_named_barrier, 0
	.set _ZN2at6native12_GLOBAL__N_131replication_pad_backward_kernelIdEEvN5torch10headeronly6detail27GenericPackedTensorAccessorINS5_14TensorAccessorIN3c108ArrayRefIlEET_Lm3ENS4_16DefaultPtrTraitsElEENS_6detail16IndexBoundsCheckILm4ElEESB_Lm4ESC_lEENS6_INS7_ISA_KSB_Lm3ESC_lEESG_SI_Lm4ESC_lEEiiii.private_seg_size, 0
	.set _ZN2at6native12_GLOBAL__N_131replication_pad_backward_kernelIdEEvN5torch10headeronly6detail27GenericPackedTensorAccessorINS5_14TensorAccessorIN3c108ArrayRefIlEET_Lm3ENS4_16DefaultPtrTraitsElEENS_6detail16IndexBoundsCheckILm4ElEESB_Lm4ESC_lEENS6_INS7_ISA_KSB_Lm3ESC_lEESG_SI_Lm4ESC_lEEiiii.uses_vcc, 1
	.set _ZN2at6native12_GLOBAL__N_131replication_pad_backward_kernelIdEEvN5torch10headeronly6detail27GenericPackedTensorAccessorINS5_14TensorAccessorIN3c108ArrayRefIlEET_Lm3ENS4_16DefaultPtrTraitsElEENS_6detail16IndexBoundsCheckILm4ElEESB_Lm4ESC_lEENS6_INS7_ISA_KSB_Lm3ESC_lEESG_SI_Lm4ESC_lEEiiii.uses_flat_scratch, 0
	.set _ZN2at6native12_GLOBAL__N_131replication_pad_backward_kernelIdEEvN5torch10headeronly6detail27GenericPackedTensorAccessorINS5_14TensorAccessorIN3c108ArrayRefIlEET_Lm3ENS4_16DefaultPtrTraitsElEENS_6detail16IndexBoundsCheckILm4ElEESB_Lm4ESC_lEENS6_INS7_ISA_KSB_Lm3ESC_lEESG_SI_Lm4ESC_lEEiiii.has_dyn_sized_stack, 0
	.set _ZN2at6native12_GLOBAL__N_131replication_pad_backward_kernelIdEEvN5torch10headeronly6detail27GenericPackedTensorAccessorINS5_14TensorAccessorIN3c108ArrayRefIlEET_Lm3ENS4_16DefaultPtrTraitsElEENS_6detail16IndexBoundsCheckILm4ElEESB_Lm4ESC_lEENS6_INS7_ISA_KSB_Lm3ESC_lEESG_SI_Lm4ESC_lEEiiii.has_recursion, 0
	.set _ZN2at6native12_GLOBAL__N_131replication_pad_backward_kernelIdEEvN5torch10headeronly6detail27GenericPackedTensorAccessorINS5_14TensorAccessorIN3c108ArrayRefIlEET_Lm3ENS4_16DefaultPtrTraitsElEENS_6detail16IndexBoundsCheckILm4ElEESB_Lm4ESC_lEENS6_INS7_ISA_KSB_Lm3ESC_lEESG_SI_Lm4ESC_lEEiiii.has_indirect_call, 0
	.section	.AMDGPU.csdata,"",@progbits
; Kernel info:
; codeLenInByte = 1440
; TotalNumSgprs: 34
; NumVgprs: 13
; ScratchSize: 0
; MemoryBound: 0
; FloatMode: 240
; IeeeMode: 1
; LDSByteSize: 0 bytes/workgroup (compile time only)
; SGPRBlocks: 4
; VGPRBlocks: 3
; NumSGPRsForWavesPerEU: 34
; NumVGPRsForWavesPerEU: 13
; Occupancy: 10
; WaveLimiterHint : 1
; COMPUTE_PGM_RSRC2:SCRATCH_EN: 0
; COMPUTE_PGM_RSRC2:USER_SGPR: 6
; COMPUTE_PGM_RSRC2:TRAP_HANDLER: 0
; COMPUTE_PGM_RSRC2:TGID_X_EN: 1
; COMPUTE_PGM_RSRC2:TGID_Y_EN: 1
; COMPUTE_PGM_RSRC2:TGID_Z_EN: 1
; COMPUTE_PGM_RSRC2:TIDIG_COMP_CNT: 0
	.section	.text._ZN2at6native12_GLOBAL__N_131replication_pad_backward_kernelIfEEvN5torch10headeronly6detail27GenericPackedTensorAccessorINS5_14TensorAccessorIN3c108ArrayRefIlEET_Lm3ENS4_16DefaultPtrTraitsElEENS_6detail16IndexBoundsCheckILm4ElEESB_Lm4ESC_lEENS6_INS7_ISA_KSB_Lm3ESC_lEESG_SI_Lm4ESC_lEEiiii,"axG",@progbits,_ZN2at6native12_GLOBAL__N_131replication_pad_backward_kernelIfEEvN5torch10headeronly6detail27GenericPackedTensorAccessorINS5_14TensorAccessorIN3c108ArrayRefIlEET_Lm3ENS4_16DefaultPtrTraitsElEENS_6detail16IndexBoundsCheckILm4ElEESB_Lm4ESC_lEENS6_INS7_ISA_KSB_Lm3ESC_lEESG_SI_Lm4ESC_lEEiiii,comdat
	.globl	_ZN2at6native12_GLOBAL__N_131replication_pad_backward_kernelIfEEvN5torch10headeronly6detail27GenericPackedTensorAccessorINS5_14TensorAccessorIN3c108ArrayRefIlEET_Lm3ENS4_16DefaultPtrTraitsElEENS_6detail16IndexBoundsCheckILm4ElEESB_Lm4ESC_lEENS6_INS7_ISA_KSB_Lm3ESC_lEESG_SI_Lm4ESC_lEEiiii ; -- Begin function _ZN2at6native12_GLOBAL__N_131replication_pad_backward_kernelIfEEvN5torch10headeronly6detail27GenericPackedTensorAccessorINS5_14TensorAccessorIN3c108ArrayRefIlEET_Lm3ENS4_16DefaultPtrTraitsElEENS_6detail16IndexBoundsCheckILm4ElEESB_Lm4ESC_lEENS6_INS7_ISA_KSB_Lm3ESC_lEESG_SI_Lm4ESC_lEEiiii
	.p2align	8
	.type	_ZN2at6native12_GLOBAL__N_131replication_pad_backward_kernelIfEEvN5torch10headeronly6detail27GenericPackedTensorAccessorINS5_14TensorAccessorIN3c108ArrayRefIlEET_Lm3ENS4_16DefaultPtrTraitsElEENS_6detail16IndexBoundsCheckILm4ElEESB_Lm4ESC_lEENS6_INS7_ISA_KSB_Lm3ESC_lEESG_SI_Lm4ESC_lEEiiii,@function
_ZN2at6native12_GLOBAL__N_131replication_pad_backward_kernelIfEEvN5torch10headeronly6detail27GenericPackedTensorAccessorINS5_14TensorAccessorIN3c108ArrayRefIlEET_Lm3ENS4_16DefaultPtrTraitsElEENS_6detail16IndexBoundsCheckILm4ElEESB_Lm4ESC_lEENS6_INS7_ISA_KSB_Lm3ESC_lEESG_SI_Lm4ESC_lEEiiii: ; @_ZN2at6native12_GLOBAL__N_131replication_pad_backward_kernelIfEEvN5torch10headeronly6detail27GenericPackedTensorAccessorINS5_14TensorAccessorIN3c108ArrayRefIlEET_Lm3ENS4_16DefaultPtrTraitsElEENS_6detail16IndexBoundsCheckILm4ElEESB_Lm4ESC_lEENS6_INS7_ISA_KSB_Lm3ESC_lEESG_SI_Lm4ESC_lEEiiii
; %bb.0:
	s_load_dword s9, s[4:5], 0xac
	s_load_dwordx4 s[0:3], s[4:5], 0x60
	s_waitcnt lgkmcnt(0)
	s_and_b32 s9, s9, 0xffff
	s_mul_i32 s6, s6, s9
	v_add_u32_e32 v0, s6, v0
	s_mul_i32 s1, s2, s1
	s_mul_hi_u32 s6, s2, s0
	s_add_i32 s1, s6, s1
	s_mul_i32 s6, s3, s0
	v_ashrrev_i32_e32 v1, 31, v0
	s_add_i32 s1, s1, s6
	s_mul_i32 s0, s2, s0
	v_cmp_gt_i64_e32 vcc, s[0:1], v[0:1]
	s_and_saveexec_b64 s[0:1], vcc
	s_cbranch_execz .LBB1_7
; %bb.1:
	v_or_b32_e32 v3, s3, v1
	v_mov_b32_e32 v2, 0
	v_cmp_ne_u64_e32 vcc, 0, v[2:3]
                                        ; implicit-def: $vgpr2_vgpr3
	s_and_saveexec_b64 s[0:1], vcc
	s_xor_b64 s[10:11], exec, s[0:1]
	s_cbranch_execz .LBB1_3
; %bb.2:
	s_ashr_i32 s12, s3, 31
	s_add_u32 s0, s2, s12
	s_mov_b32 s13, s12
	s_addc_u32 s1, s3, s12
	s_xor_b64 s[14:15], s[0:1], s[12:13]
	v_cvt_f32_u32_e32 v2, s14
	v_cvt_f32_u32_e32 v3, s15
	s_sub_u32 s6, 0, s14
	s_subb_u32 s9, 0, s15
	v_ashrrev_i32_e32 v6, 31, v1
	v_madmk_f32 v2, v3, 0x4f800000, v2
	v_rcp_f32_e32 v2, v2
	v_mul_f32_e32 v2, 0x5f7ffffc, v2
	v_mul_f32_e32 v3, 0x2f800000, v2
	v_trunc_f32_e32 v3, v3
	v_madmk_f32 v2, v3, 0xcf800000, v2
	v_cvt_u32_f32_e32 v3, v3
	v_cvt_u32_f32_e32 v2, v2
	v_readfirstlane_b32 s13, v3
	v_readfirstlane_b32 s0, v2
	s_mul_i32 s1, s6, s13
	s_mul_hi_u32 s17, s6, s0
	s_mul_i32 s16, s9, s0
	s_add_i32 s1, s17, s1
	s_add_i32 s1, s1, s16
	s_mul_i32 s18, s6, s0
	s_mul_i32 s17, s0, s1
	s_mul_hi_u32 s19, s0, s18
	s_mul_hi_u32 s16, s0, s1
	s_add_u32 s17, s19, s17
	s_addc_u32 s16, 0, s16
	s_mul_hi_u32 s20, s13, s18
	s_mul_i32 s18, s13, s18
	s_add_u32 s17, s17, s18
	s_mul_hi_u32 s19, s13, s1
	s_addc_u32 s16, s16, s20
	s_addc_u32 s17, s19, 0
	s_mul_i32 s1, s13, s1
	s_add_u32 s1, s16, s1
	s_addc_u32 s16, 0, s17
	s_add_u32 s17, s0, s1
	s_cselect_b64 s[0:1], -1, 0
	s_cmp_lg_u64 s[0:1], 0
	s_addc_u32 s13, s13, s16
	s_mul_i32 s0, s6, s13
	s_mul_hi_u32 s1, s6, s17
	s_add_i32 s0, s1, s0
	s_mul_i32 s9, s9, s17
	s_add_i32 s0, s0, s9
	s_mul_i32 s6, s6, s17
	s_mul_hi_u32 s9, s13, s6
	s_mul_i32 s16, s13, s6
	s_mul_i32 s19, s17, s0
	s_mul_hi_u32 s6, s17, s6
	s_mul_hi_u32 s18, s17, s0
	s_add_u32 s6, s6, s19
	s_addc_u32 s18, 0, s18
	s_add_u32 s6, s6, s16
	s_mul_hi_u32 s1, s13, s0
	s_addc_u32 s6, s18, s9
	s_addc_u32 s1, s1, 0
	s_mul_i32 s0, s13, s0
	s_add_u32 s0, s6, s0
	s_addc_u32 s6, 0, s1
	s_add_u32 s9, s17, s0
	s_cselect_b64 s[0:1], -1, 0
	s_cmp_lg_u64 s[0:1], 0
	v_add_co_u32_e32 v2, vcc, v0, v6
	s_addc_u32 s6, s13, s6
	v_xor_b32_e32 v7, v2, v6
	v_mad_u64_u32 v[2:3], s[0:1], v7, s6, 0
	v_mul_hi_u32 v5, v7, s9
	v_addc_co_u32_e32 v4, vcc, v1, v6, vcc
	v_xor_b32_e32 v8, v4, v6
	v_add_co_u32_e32 v9, vcc, v5, v2
	v_addc_co_u32_e32 v10, vcc, 0, v3, vcc
	v_mad_u64_u32 v[2:3], s[0:1], v8, s9, 0
	v_mad_u64_u32 v[4:5], s[0:1], v8, s6, 0
	v_add_co_u32_e32 v2, vcc, v9, v2
	v_addc_co_u32_e32 v2, vcc, v10, v3, vcc
	v_addc_co_u32_e32 v3, vcc, 0, v5, vcc
	v_add_co_u32_e32 v4, vcc, v2, v4
	v_addc_co_u32_e32 v5, vcc, 0, v3, vcc
	v_mul_lo_u32 v9, s15, v4
	v_mul_lo_u32 v10, s14, v5
	v_mad_u64_u32 v[2:3], s[0:1], s14, v4, 0
	v_add3_u32 v3, v3, v10, v9
	v_sub_u32_e32 v9, v8, v3
	v_mov_b32_e32 v10, s15
	v_sub_co_u32_e32 v2, vcc, v7, v2
	v_subb_co_u32_e64 v7, s[0:1], v9, v10, vcc
	v_subrev_co_u32_e64 v9, s[0:1], s14, v2
	v_subbrev_co_u32_e64 v7, s[0:1], 0, v7, s[0:1]
	v_cmp_le_u32_e64 s[0:1], s15, v7
	v_cndmask_b32_e64 v10, 0, -1, s[0:1]
	v_cmp_le_u32_e64 s[0:1], s14, v9
	v_cndmask_b32_e64 v9, 0, -1, s[0:1]
	v_cmp_eq_u32_e64 s[0:1], s15, v7
	v_cndmask_b32_e64 v7, v10, v9, s[0:1]
	v_add_co_u32_e64 v9, s[0:1], 2, v4
	v_subb_co_u32_e32 v3, vcc, v8, v3, vcc
	v_addc_co_u32_e64 v10, s[0:1], 0, v5, s[0:1]
	v_cmp_le_u32_e32 vcc, s15, v3
	v_add_co_u32_e64 v11, s[0:1], 1, v4
	v_cndmask_b32_e64 v8, 0, -1, vcc
	v_cmp_le_u32_e32 vcc, s14, v2
	v_addc_co_u32_e64 v12, s[0:1], 0, v5, s[0:1]
	v_cndmask_b32_e64 v2, 0, -1, vcc
	v_cmp_eq_u32_e32 vcc, s15, v3
	v_cmp_ne_u32_e64 s[0:1], 0, v7
	v_cndmask_b32_e32 v2, v8, v2, vcc
	v_cndmask_b32_e64 v7, v12, v10, s[0:1]
	v_cmp_ne_u32_e32 vcc, 0, v2
	v_cndmask_b32_e64 v3, v11, v9, s[0:1]
	v_cndmask_b32_e32 v2, v5, v7, vcc
	v_cndmask_b32_e32 v3, v4, v3, vcc
	v_xor_b32_e32 v4, s12, v6
	v_xor_b32_e32 v5, v2, v4
	;; [unrolled: 1-line block ×3, first 2 shown]
	v_sub_co_u32_e32 v2, vcc, v2, v4
	v_subb_co_u32_e32 v3, vcc, v5, v4, vcc
.LBB1_3:
	s_andn2_saveexec_b64 s[0:1], s[10:11]
	s_cbranch_execz .LBB1_5
; %bb.4:
	v_cvt_f32_u32_e32 v2, s2
	s_sub_i32 s6, 0, s2
	v_rcp_iflag_f32_e32 v2, v2
	v_mul_f32_e32 v2, 0x4f7ffffe, v2
	v_cvt_u32_f32_e32 v2, v2
	v_mul_lo_u32 v3, s6, v2
	v_mul_hi_u32 v3, v2, v3
	v_add_u32_e32 v2, v2, v3
	v_mul_hi_u32 v2, v0, v2
	v_mul_lo_u32 v3, v2, s2
	v_add_u32_e32 v4, 1, v2
	v_sub_u32_e32 v3, v0, v3
	v_subrev_u32_e32 v5, s2, v3
	v_cmp_le_u32_e32 vcc, s2, v3
	v_cndmask_b32_e32 v3, v3, v5, vcc
	v_cndmask_b32_e32 v2, v2, v4, vcc
	v_add_u32_e32 v4, 1, v2
	v_cmp_le_u32_e32 vcc, s2, v3
	v_cndmask_b32_e32 v2, v2, v4, vcc
	v_mov_b32_e32 v3, 0
.LBB1_5:
	s_or_b64 exec, exec, s[0:1]
	s_load_dwordx4 s[16:19], s[4:5], 0x90
	v_mul_lo_u32 v5, v3, s2
	v_mad_u64_u32 v[3:4], s[0:1], v2, s2, 0
	v_mul_lo_u32 v6, v2, s3
	s_waitcnt lgkmcnt(0)
	s_add_i32 s26, s19, s8
	s_load_dwordx8 s[8:15], s[4:5], 0x18
	v_sub_co_u32_e32 v3, vcc, v0, v3
	s_sub_i32 s0, 0, s17
	s_add_i32 s27, s18, s7
	s_waitcnt lgkmcnt(0)
	s_add_i32 s9, s17, s10
	s_max_i32 s18, s0, 0
	s_max_i32 s19, s17, 0
	v_max_i32_e32 v0, s17, v3
	s_add_i32 s9, s9, -1
	v_min_i32_e32 v0, s9, v0
	s_sub_i32 s9, s18, s19
	v_add3_u32 v4, v4, v6, v5
	s_sub_i32 s0, 0, s16
	s_max_i32 s29, s16, 0
	v_add_u32_e32 v5, s9, v0
	v_max_i32_e32 v0, s16, v2
	s_add_i32 s8, s16, s8
	s_load_dwordx8 s[16:23], s[4:5], 0x70
	s_max_i32 s28, s0, 0
	s_add_i32 s8, s8, -1
	s_load_dwordx2 s[6:7], s[4:5], 0x0
	s_load_dwordx2 s[24:25], s[4:5], 0x48
	s_load_dwordx4 s[0:3], s[4:5], 0x38
	v_min_i32_e32 v0, s8, v0
	s_sub_i32 s4, s28, s29
	s_ashr_i32 s10, s26, 31
	v_add_u32_e32 v6, s4, v0
	s_waitcnt lgkmcnt(0)
	s_mul_i32 s4, s16, s10
	s_mul_hi_u32 s5, s16, s26
	s_add_i32 s4, s5, s4
	s_mul_i32 s5, s17, s26
	s_add_i32 s5, s4, s5
	s_mul_i32 s4, s16, s26
	s_lshl_b64 s[4:5], s[4:5], 2
	s_add_u32 s11, s24, s4
	s_addc_u32 s16, s25, s5
	s_ashr_i32 s17, s27, 31
	s_mul_i32 s4, s18, s17
	s_mul_hi_u32 s5, s18, s27
	s_add_i32 s4, s5, s4
	s_mul_i32 s5, s19, s27
	v_ashrrev_i32_e32 v0, 31, v2
	v_subb_co_u32_e32 v4, vcc, v1, v4, vcc
	s_add_i32 s5, s4, s5
	s_mul_i32 s4, s18, s27
	v_mul_lo_u32 v7, s21, v2
	v_mul_lo_u32 v8, s20, v0
	v_mad_u64_u32 v[0:1], s[8:9], s20, v2, 0
	s_lshl_b64 s[4:5], s[4:5], 2
	s_add_u32 s8, s11, s4
	s_addc_u32 s4, s16, s5
	v_add3_u32 v1, v1, v8, v7
	v_mov_b32_e32 v7, s4
	v_mul_lo_u32 v8, s23, v3
	v_mul_lo_u32 v4, s22, v4
	v_mad_u64_u32 v[2:3], s[4:5], s22, v3, 0
	v_lshlrev_b64 v[0:1], 2, v[0:1]
	s_mul_i32 s4, s12, s10
	v_add_co_u32_e32 v9, vcc, s8, v0
	v_add3_u32 v3, v3, v4, v8
	s_mul_hi_u32 s5, s12, s26
	v_addc_co_u32_e32 v7, vcc, v7, v1, vcc
	v_lshlrev_b64 v[0:1], 2, v[2:3]
	s_add_i32 s4, s5, s4
	s_mul_i32 s5, s13, s26
	s_add_i32 s5, s4, s5
	s_mul_i32 s4, s12, s26
	v_add_co_u32_e32 v0, vcc, v9, v0
	s_lshl_b64 s[4:5], s[4:5], 2
	v_addc_co_u32_e32 v1, vcc, v7, v1, vcc
	s_add_u32 s6, s6, s4
	global_load_dword v4, v[0:1], off
	s_addc_u32 s7, s7, s5
	s_mul_i32 s4, s14, s17
	s_mul_hi_u32 s5, s14, s27
	v_ashrrev_i32_e32 v0, 31, v6
	s_add_i32 s4, s5, s4
	s_mul_i32 s5, s15, s27
	v_mul_lo_u32 v2, s0, v0
	v_mul_lo_u32 v3, s1, v6
	v_mad_u64_u32 v[0:1], s[0:1], s0, v6, 0
	s_add_i32 s5, s4, s5
	s_mul_i32 s4, s14, s27
	s_lshl_b64 s[0:1], s[4:5], 2
	s_add_u32 s4, s6, s0
	s_addc_u32 s0, s7, s1
	v_add3_u32 v1, v1, v2, v3
	v_ashrrev_i32_e32 v2, 31, v5
	v_mov_b32_e32 v6, s0
	v_mul_lo_u32 v7, s2, v2
	v_mul_lo_u32 v8, s3, v5
	v_mad_u64_u32 v[2:3], s[0:1], s2, v5, 0
	v_lshlrev_b64 v[0:1], 2, v[0:1]
	s_mov_b64 s[0:1], 0
	v_add_co_u32_e32 v5, vcc, s4, v0
	v_add3_u32 v3, v3, v7, v8
	v_addc_co_u32_e32 v6, vcc, v6, v1, vcc
	v_lshlrev_b64 v[0:1], 2, v[2:3]
	v_add_co_u32_e32 v0, vcc, v5, v0
	v_addc_co_u32_e32 v1, vcc, v6, v1, vcc
	global_load_dword v3, v[0:1], off
.LBB1_6:                                ; =>This Inner Loop Header: Depth=1
	s_waitcnt vmcnt(0)
	v_add_f32_e32 v2, v3, v4
	global_atomic_cmpswap v2, v[0:1], v[2:3], off glc
	s_waitcnt vmcnt(0)
	v_cmp_eq_u32_e32 vcc, v2, v3
	s_or_b64 s[0:1], vcc, s[0:1]
	v_mov_b32_e32 v3, v2
	s_andn2_b64 exec, exec, s[0:1]
	s_cbranch_execnz .LBB1_6
.LBB1_7:
	s_endpgm
	.section	.rodata,"a",@progbits
	.p2align	6, 0x0
	.amdhsa_kernel _ZN2at6native12_GLOBAL__N_131replication_pad_backward_kernelIfEEvN5torch10headeronly6detail27GenericPackedTensorAccessorINS5_14TensorAccessorIN3c108ArrayRefIlEET_Lm3ENS4_16DefaultPtrTraitsElEENS_6detail16IndexBoundsCheckILm4ElEESB_Lm4ESC_lEENS6_INS7_ISA_KSB_Lm3ESC_lEESG_SI_Lm4ESC_lEEiiii
		.amdhsa_group_segment_fixed_size 0
		.amdhsa_private_segment_fixed_size 0
		.amdhsa_kernarg_size 416
		.amdhsa_user_sgpr_count 6
		.amdhsa_user_sgpr_private_segment_buffer 1
		.amdhsa_user_sgpr_dispatch_ptr 0
		.amdhsa_user_sgpr_queue_ptr 0
		.amdhsa_user_sgpr_kernarg_segment_ptr 1
		.amdhsa_user_sgpr_dispatch_id 0
		.amdhsa_user_sgpr_flat_scratch_init 0
		.amdhsa_user_sgpr_private_segment_size 0
		.amdhsa_uses_dynamic_stack 0
		.amdhsa_system_sgpr_private_segment_wavefront_offset 0
		.amdhsa_system_sgpr_workgroup_id_x 1
		.amdhsa_system_sgpr_workgroup_id_y 1
		.amdhsa_system_sgpr_workgroup_id_z 1
		.amdhsa_system_sgpr_workgroup_info 0
		.amdhsa_system_vgpr_workitem_id 0
		.amdhsa_next_free_vgpr 13
		.amdhsa_next_free_sgpr 30
		.amdhsa_reserve_vcc 1
		.amdhsa_reserve_flat_scratch 0
		.amdhsa_float_round_mode_32 0
		.amdhsa_float_round_mode_16_64 0
		.amdhsa_float_denorm_mode_32 3
		.amdhsa_float_denorm_mode_16_64 3
		.amdhsa_dx10_clamp 1
		.amdhsa_ieee_mode 1
		.amdhsa_fp16_overflow 0
		.amdhsa_exception_fp_ieee_invalid_op 0
		.amdhsa_exception_fp_denorm_src 0
		.amdhsa_exception_fp_ieee_div_zero 0
		.amdhsa_exception_fp_ieee_overflow 0
		.amdhsa_exception_fp_ieee_underflow 0
		.amdhsa_exception_fp_ieee_inexact 0
		.amdhsa_exception_int_div_zero 0
	.end_amdhsa_kernel
	.section	.text._ZN2at6native12_GLOBAL__N_131replication_pad_backward_kernelIfEEvN5torch10headeronly6detail27GenericPackedTensorAccessorINS5_14TensorAccessorIN3c108ArrayRefIlEET_Lm3ENS4_16DefaultPtrTraitsElEENS_6detail16IndexBoundsCheckILm4ElEESB_Lm4ESC_lEENS6_INS7_ISA_KSB_Lm3ESC_lEESG_SI_Lm4ESC_lEEiiii,"axG",@progbits,_ZN2at6native12_GLOBAL__N_131replication_pad_backward_kernelIfEEvN5torch10headeronly6detail27GenericPackedTensorAccessorINS5_14TensorAccessorIN3c108ArrayRefIlEET_Lm3ENS4_16DefaultPtrTraitsElEENS_6detail16IndexBoundsCheckILm4ElEESB_Lm4ESC_lEENS6_INS7_ISA_KSB_Lm3ESC_lEESG_SI_Lm4ESC_lEEiiii,comdat
.Lfunc_end1:
	.size	_ZN2at6native12_GLOBAL__N_131replication_pad_backward_kernelIfEEvN5torch10headeronly6detail27GenericPackedTensorAccessorINS5_14TensorAccessorIN3c108ArrayRefIlEET_Lm3ENS4_16DefaultPtrTraitsElEENS_6detail16IndexBoundsCheckILm4ElEESB_Lm4ESC_lEENS6_INS7_ISA_KSB_Lm3ESC_lEESG_SI_Lm4ESC_lEEiiii, .Lfunc_end1-_ZN2at6native12_GLOBAL__N_131replication_pad_backward_kernelIfEEvN5torch10headeronly6detail27GenericPackedTensorAccessorINS5_14TensorAccessorIN3c108ArrayRefIlEET_Lm3ENS4_16DefaultPtrTraitsElEENS_6detail16IndexBoundsCheckILm4ElEESB_Lm4ESC_lEENS6_INS7_ISA_KSB_Lm3ESC_lEESG_SI_Lm4ESC_lEEiiii
                                        ; -- End function
	.set _ZN2at6native12_GLOBAL__N_131replication_pad_backward_kernelIfEEvN5torch10headeronly6detail27GenericPackedTensorAccessorINS5_14TensorAccessorIN3c108ArrayRefIlEET_Lm3ENS4_16DefaultPtrTraitsElEENS_6detail16IndexBoundsCheckILm4ElEESB_Lm4ESC_lEENS6_INS7_ISA_KSB_Lm3ESC_lEESG_SI_Lm4ESC_lEEiiii.num_vgpr, 13
	.set _ZN2at6native12_GLOBAL__N_131replication_pad_backward_kernelIfEEvN5torch10headeronly6detail27GenericPackedTensorAccessorINS5_14TensorAccessorIN3c108ArrayRefIlEET_Lm3ENS4_16DefaultPtrTraitsElEENS_6detail16IndexBoundsCheckILm4ElEESB_Lm4ESC_lEENS6_INS7_ISA_KSB_Lm3ESC_lEESG_SI_Lm4ESC_lEEiiii.num_agpr, 0
	.set _ZN2at6native12_GLOBAL__N_131replication_pad_backward_kernelIfEEvN5torch10headeronly6detail27GenericPackedTensorAccessorINS5_14TensorAccessorIN3c108ArrayRefIlEET_Lm3ENS4_16DefaultPtrTraitsElEENS_6detail16IndexBoundsCheckILm4ElEESB_Lm4ESC_lEENS6_INS7_ISA_KSB_Lm3ESC_lEESG_SI_Lm4ESC_lEEiiii.numbered_sgpr, 30
	.set _ZN2at6native12_GLOBAL__N_131replication_pad_backward_kernelIfEEvN5torch10headeronly6detail27GenericPackedTensorAccessorINS5_14TensorAccessorIN3c108ArrayRefIlEET_Lm3ENS4_16DefaultPtrTraitsElEENS_6detail16IndexBoundsCheckILm4ElEESB_Lm4ESC_lEENS6_INS7_ISA_KSB_Lm3ESC_lEESG_SI_Lm4ESC_lEEiiii.num_named_barrier, 0
	.set _ZN2at6native12_GLOBAL__N_131replication_pad_backward_kernelIfEEvN5torch10headeronly6detail27GenericPackedTensorAccessorINS5_14TensorAccessorIN3c108ArrayRefIlEET_Lm3ENS4_16DefaultPtrTraitsElEENS_6detail16IndexBoundsCheckILm4ElEESB_Lm4ESC_lEENS6_INS7_ISA_KSB_Lm3ESC_lEESG_SI_Lm4ESC_lEEiiii.private_seg_size, 0
	.set _ZN2at6native12_GLOBAL__N_131replication_pad_backward_kernelIfEEvN5torch10headeronly6detail27GenericPackedTensorAccessorINS5_14TensorAccessorIN3c108ArrayRefIlEET_Lm3ENS4_16DefaultPtrTraitsElEENS_6detail16IndexBoundsCheckILm4ElEESB_Lm4ESC_lEENS6_INS7_ISA_KSB_Lm3ESC_lEESG_SI_Lm4ESC_lEEiiii.uses_vcc, 1
	.set _ZN2at6native12_GLOBAL__N_131replication_pad_backward_kernelIfEEvN5torch10headeronly6detail27GenericPackedTensorAccessorINS5_14TensorAccessorIN3c108ArrayRefIlEET_Lm3ENS4_16DefaultPtrTraitsElEENS_6detail16IndexBoundsCheckILm4ElEESB_Lm4ESC_lEENS6_INS7_ISA_KSB_Lm3ESC_lEESG_SI_Lm4ESC_lEEiiii.uses_flat_scratch, 0
	.set _ZN2at6native12_GLOBAL__N_131replication_pad_backward_kernelIfEEvN5torch10headeronly6detail27GenericPackedTensorAccessorINS5_14TensorAccessorIN3c108ArrayRefIlEET_Lm3ENS4_16DefaultPtrTraitsElEENS_6detail16IndexBoundsCheckILm4ElEESB_Lm4ESC_lEENS6_INS7_ISA_KSB_Lm3ESC_lEESG_SI_Lm4ESC_lEEiiii.has_dyn_sized_stack, 0
	.set _ZN2at6native12_GLOBAL__N_131replication_pad_backward_kernelIfEEvN5torch10headeronly6detail27GenericPackedTensorAccessorINS5_14TensorAccessorIN3c108ArrayRefIlEET_Lm3ENS4_16DefaultPtrTraitsElEENS_6detail16IndexBoundsCheckILm4ElEESB_Lm4ESC_lEENS6_INS7_ISA_KSB_Lm3ESC_lEESG_SI_Lm4ESC_lEEiiii.has_recursion, 0
	.set _ZN2at6native12_GLOBAL__N_131replication_pad_backward_kernelIfEEvN5torch10headeronly6detail27GenericPackedTensorAccessorINS5_14TensorAccessorIN3c108ArrayRefIlEET_Lm3ENS4_16DefaultPtrTraitsElEENS_6detail16IndexBoundsCheckILm4ElEESB_Lm4ESC_lEENS6_INS7_ISA_KSB_Lm3ESC_lEESG_SI_Lm4ESC_lEEiiii.has_indirect_call, 0
	.section	.AMDGPU.csdata,"",@progbits
; Kernel info:
; codeLenInByte = 1432
; TotalNumSgprs: 34
; NumVgprs: 13
; ScratchSize: 0
; MemoryBound: 0
; FloatMode: 240
; IeeeMode: 1
; LDSByteSize: 0 bytes/workgroup (compile time only)
; SGPRBlocks: 4
; VGPRBlocks: 3
; NumSGPRsForWavesPerEU: 34
; NumVGPRsForWavesPerEU: 13
; Occupancy: 10
; WaveLimiterHint : 1
; COMPUTE_PGM_RSRC2:SCRATCH_EN: 0
; COMPUTE_PGM_RSRC2:USER_SGPR: 6
; COMPUTE_PGM_RSRC2:TRAP_HANDLER: 0
; COMPUTE_PGM_RSRC2:TGID_X_EN: 1
; COMPUTE_PGM_RSRC2:TGID_Y_EN: 1
; COMPUTE_PGM_RSRC2:TGID_Z_EN: 1
; COMPUTE_PGM_RSRC2:TIDIG_COMP_CNT: 0
	.section	.text._ZN2at6native12_GLOBAL__N_131replication_pad_backward_kernelIN3c107complexIdEEEEvN5torch10headeronly6detail27GenericPackedTensorAccessorINS8_14TensorAccessorINS3_8ArrayRefIlEET_Lm3ENS7_16DefaultPtrTraitsElEENS_6detail16IndexBoundsCheckILm4ElEESD_Lm4ESE_lEENS9_INSA_ISC_KSD_Lm3ESE_lEESI_SK_Lm4ESE_lEEiiii,"axG",@progbits,_ZN2at6native12_GLOBAL__N_131replication_pad_backward_kernelIN3c107complexIdEEEEvN5torch10headeronly6detail27GenericPackedTensorAccessorINS8_14TensorAccessorINS3_8ArrayRefIlEET_Lm3ENS7_16DefaultPtrTraitsElEENS_6detail16IndexBoundsCheckILm4ElEESD_Lm4ESE_lEENS9_INSA_ISC_KSD_Lm3ESE_lEESI_SK_Lm4ESE_lEEiiii,comdat
	.globl	_ZN2at6native12_GLOBAL__N_131replication_pad_backward_kernelIN3c107complexIdEEEEvN5torch10headeronly6detail27GenericPackedTensorAccessorINS8_14TensorAccessorINS3_8ArrayRefIlEET_Lm3ENS7_16DefaultPtrTraitsElEENS_6detail16IndexBoundsCheckILm4ElEESD_Lm4ESE_lEENS9_INSA_ISC_KSD_Lm3ESE_lEESI_SK_Lm4ESE_lEEiiii ; -- Begin function _ZN2at6native12_GLOBAL__N_131replication_pad_backward_kernelIN3c107complexIdEEEEvN5torch10headeronly6detail27GenericPackedTensorAccessorINS8_14TensorAccessorINS3_8ArrayRefIlEET_Lm3ENS7_16DefaultPtrTraitsElEENS_6detail16IndexBoundsCheckILm4ElEESD_Lm4ESE_lEENS9_INSA_ISC_KSD_Lm3ESE_lEESI_SK_Lm4ESE_lEEiiii
	.p2align	8
	.type	_ZN2at6native12_GLOBAL__N_131replication_pad_backward_kernelIN3c107complexIdEEEEvN5torch10headeronly6detail27GenericPackedTensorAccessorINS8_14TensorAccessorINS3_8ArrayRefIlEET_Lm3ENS7_16DefaultPtrTraitsElEENS_6detail16IndexBoundsCheckILm4ElEESD_Lm4ESE_lEENS9_INSA_ISC_KSD_Lm3ESE_lEESI_SK_Lm4ESE_lEEiiii,@function
_ZN2at6native12_GLOBAL__N_131replication_pad_backward_kernelIN3c107complexIdEEEEvN5torch10headeronly6detail27GenericPackedTensorAccessorINS8_14TensorAccessorINS3_8ArrayRefIlEET_Lm3ENS7_16DefaultPtrTraitsElEENS_6detail16IndexBoundsCheckILm4ElEESD_Lm4ESE_lEENS9_INSA_ISC_KSD_Lm3ESE_lEESI_SK_Lm4ESE_lEEiiii: ; @_ZN2at6native12_GLOBAL__N_131replication_pad_backward_kernelIN3c107complexIdEEEEvN5torch10headeronly6detail27GenericPackedTensorAccessorINS8_14TensorAccessorINS3_8ArrayRefIlEET_Lm3ENS7_16DefaultPtrTraitsElEENS_6detail16IndexBoundsCheckILm4ElEESD_Lm4ESE_lEENS9_INSA_ISC_KSD_Lm3ESE_lEESI_SK_Lm4ESE_lEEiiii
; %bb.0:
	s_load_dword s9, s[4:5], 0xac
	s_load_dwordx4 s[0:3], s[4:5], 0x60
	s_waitcnt lgkmcnt(0)
	s_and_b32 s9, s9, 0xffff
	s_mul_i32 s6, s6, s9
	v_add_u32_e32 v0, s6, v0
	s_mul_i32 s1, s2, s1
	s_mul_hi_u32 s6, s2, s0
	s_add_i32 s1, s6, s1
	s_mul_i32 s6, s3, s0
	v_ashrrev_i32_e32 v1, 31, v0
	s_add_i32 s1, s1, s6
	s_mul_i32 s0, s2, s0
	v_cmp_gt_i64_e32 vcc, s[0:1], v[0:1]
	s_and_saveexec_b64 s[0:1], vcc
	s_cbranch_execz .LBB2_9
; %bb.1:
	v_or_b32_e32 v3, s3, v1
	v_mov_b32_e32 v2, 0
	v_cmp_ne_u64_e32 vcc, 0, v[2:3]
                                        ; implicit-def: $vgpr2_vgpr3
	s_and_saveexec_b64 s[0:1], vcc
	s_xor_b64 s[10:11], exec, s[0:1]
	s_cbranch_execz .LBB2_3
; %bb.2:
	s_ashr_i32 s12, s3, 31
	s_add_u32 s0, s2, s12
	s_mov_b32 s13, s12
	s_addc_u32 s1, s3, s12
	s_xor_b64 s[14:15], s[0:1], s[12:13]
	v_cvt_f32_u32_e32 v2, s14
	v_cvt_f32_u32_e32 v3, s15
	s_sub_u32 s6, 0, s14
	s_subb_u32 s9, 0, s15
	v_ashrrev_i32_e32 v6, 31, v1
	v_madmk_f32 v2, v3, 0x4f800000, v2
	v_rcp_f32_e32 v2, v2
	v_mul_f32_e32 v2, 0x5f7ffffc, v2
	v_mul_f32_e32 v3, 0x2f800000, v2
	v_trunc_f32_e32 v3, v3
	v_madmk_f32 v2, v3, 0xcf800000, v2
	v_cvt_u32_f32_e32 v3, v3
	v_cvt_u32_f32_e32 v2, v2
	v_readfirstlane_b32 s13, v3
	v_readfirstlane_b32 s0, v2
	s_mul_i32 s1, s6, s13
	s_mul_hi_u32 s17, s6, s0
	s_mul_i32 s16, s9, s0
	s_add_i32 s1, s17, s1
	s_add_i32 s1, s1, s16
	s_mul_i32 s18, s6, s0
	s_mul_i32 s17, s0, s1
	s_mul_hi_u32 s19, s0, s18
	s_mul_hi_u32 s16, s0, s1
	s_add_u32 s17, s19, s17
	s_addc_u32 s16, 0, s16
	s_mul_hi_u32 s20, s13, s18
	s_mul_i32 s18, s13, s18
	s_add_u32 s17, s17, s18
	s_mul_hi_u32 s19, s13, s1
	s_addc_u32 s16, s16, s20
	s_addc_u32 s17, s19, 0
	s_mul_i32 s1, s13, s1
	s_add_u32 s1, s16, s1
	s_addc_u32 s16, 0, s17
	s_add_u32 s17, s0, s1
	s_cselect_b64 s[0:1], -1, 0
	s_cmp_lg_u64 s[0:1], 0
	s_addc_u32 s13, s13, s16
	s_mul_i32 s0, s6, s13
	s_mul_hi_u32 s1, s6, s17
	s_add_i32 s0, s1, s0
	s_mul_i32 s9, s9, s17
	s_add_i32 s0, s0, s9
	s_mul_i32 s6, s6, s17
	s_mul_hi_u32 s9, s13, s6
	s_mul_i32 s16, s13, s6
	s_mul_i32 s19, s17, s0
	s_mul_hi_u32 s6, s17, s6
	s_mul_hi_u32 s18, s17, s0
	s_add_u32 s6, s6, s19
	s_addc_u32 s18, 0, s18
	s_add_u32 s6, s6, s16
	s_mul_hi_u32 s1, s13, s0
	s_addc_u32 s6, s18, s9
	s_addc_u32 s1, s1, 0
	s_mul_i32 s0, s13, s0
	s_add_u32 s0, s6, s0
	s_addc_u32 s6, 0, s1
	s_add_u32 s9, s17, s0
	s_cselect_b64 s[0:1], -1, 0
	s_cmp_lg_u64 s[0:1], 0
	v_add_co_u32_e32 v2, vcc, v0, v6
	s_addc_u32 s6, s13, s6
	v_xor_b32_e32 v7, v2, v6
	v_mad_u64_u32 v[2:3], s[0:1], v7, s6, 0
	v_mul_hi_u32 v5, v7, s9
	v_addc_co_u32_e32 v4, vcc, v1, v6, vcc
	v_xor_b32_e32 v8, v4, v6
	v_add_co_u32_e32 v9, vcc, v5, v2
	v_addc_co_u32_e32 v10, vcc, 0, v3, vcc
	v_mad_u64_u32 v[2:3], s[0:1], v8, s9, 0
	v_mad_u64_u32 v[4:5], s[0:1], v8, s6, 0
	v_add_co_u32_e32 v2, vcc, v9, v2
	v_addc_co_u32_e32 v2, vcc, v10, v3, vcc
	v_addc_co_u32_e32 v3, vcc, 0, v5, vcc
	v_add_co_u32_e32 v4, vcc, v2, v4
	v_addc_co_u32_e32 v5, vcc, 0, v3, vcc
	v_mul_lo_u32 v9, s15, v4
	v_mul_lo_u32 v10, s14, v5
	v_mad_u64_u32 v[2:3], s[0:1], s14, v4, 0
	v_add3_u32 v3, v3, v10, v9
	v_sub_u32_e32 v9, v8, v3
	v_mov_b32_e32 v10, s15
	v_sub_co_u32_e32 v2, vcc, v7, v2
	v_subb_co_u32_e64 v7, s[0:1], v9, v10, vcc
	v_subrev_co_u32_e64 v9, s[0:1], s14, v2
	v_subbrev_co_u32_e64 v7, s[0:1], 0, v7, s[0:1]
	v_cmp_le_u32_e64 s[0:1], s15, v7
	v_cndmask_b32_e64 v10, 0, -1, s[0:1]
	v_cmp_le_u32_e64 s[0:1], s14, v9
	v_cndmask_b32_e64 v9, 0, -1, s[0:1]
	v_cmp_eq_u32_e64 s[0:1], s15, v7
	v_cndmask_b32_e64 v7, v10, v9, s[0:1]
	v_add_co_u32_e64 v9, s[0:1], 2, v4
	v_subb_co_u32_e32 v3, vcc, v8, v3, vcc
	v_addc_co_u32_e64 v10, s[0:1], 0, v5, s[0:1]
	v_cmp_le_u32_e32 vcc, s15, v3
	v_add_co_u32_e64 v11, s[0:1], 1, v4
	v_cndmask_b32_e64 v8, 0, -1, vcc
	v_cmp_le_u32_e32 vcc, s14, v2
	v_addc_co_u32_e64 v12, s[0:1], 0, v5, s[0:1]
	v_cndmask_b32_e64 v2, 0, -1, vcc
	v_cmp_eq_u32_e32 vcc, s15, v3
	v_cmp_ne_u32_e64 s[0:1], 0, v7
	v_cndmask_b32_e32 v2, v8, v2, vcc
	v_cndmask_b32_e64 v7, v12, v10, s[0:1]
	v_cmp_ne_u32_e32 vcc, 0, v2
	v_cndmask_b32_e64 v3, v11, v9, s[0:1]
	v_cndmask_b32_e32 v2, v5, v7, vcc
	v_cndmask_b32_e32 v3, v4, v3, vcc
	v_xor_b32_e32 v4, s12, v6
	v_xor_b32_e32 v5, v2, v4
	;; [unrolled: 1-line block ×3, first 2 shown]
	v_sub_co_u32_e32 v2, vcc, v2, v4
	v_subb_co_u32_e32 v3, vcc, v5, v4, vcc
.LBB2_3:
	s_andn2_saveexec_b64 s[0:1], s[10:11]
	s_cbranch_execz .LBB2_5
; %bb.4:
	v_cvt_f32_u32_e32 v2, s2
	s_sub_i32 s6, 0, s2
	v_rcp_iflag_f32_e32 v2, v2
	v_mul_f32_e32 v2, 0x4f7ffffe, v2
	v_cvt_u32_f32_e32 v2, v2
	v_mul_lo_u32 v3, s6, v2
	v_mul_hi_u32 v3, v2, v3
	v_add_u32_e32 v2, v2, v3
	v_mul_hi_u32 v2, v0, v2
	v_mul_lo_u32 v3, v2, s2
	v_add_u32_e32 v4, 1, v2
	v_sub_u32_e32 v3, v0, v3
	v_subrev_u32_e32 v5, s2, v3
	v_cmp_le_u32_e32 vcc, s2, v3
	v_cndmask_b32_e32 v3, v3, v5, vcc
	v_cndmask_b32_e32 v2, v2, v4, vcc
	v_add_u32_e32 v4, 1, v2
	v_cmp_le_u32_e32 vcc, s2, v3
	v_cndmask_b32_e32 v2, v2, v4, vcc
	v_mov_b32_e32 v3, 0
.LBB2_5:
	s_or_b64 exec, exec, s[0:1]
	s_load_dwordx4 s[16:19], s[4:5], 0x90
	v_mul_lo_u32 v5, v3, s2
	v_mad_u64_u32 v[3:4], s[0:1], v2, s2, 0
	v_mul_lo_u32 v6, v2, s3
	s_waitcnt lgkmcnt(0)
	s_add_i32 s26, s19, s8
	s_load_dwordx8 s[8:15], s[4:5], 0x18
	v_sub_co_u32_e32 v3, vcc, v0, v3
	s_sub_i32 s0, 0, s17
	s_add_i32 s27, s18, s7
	s_waitcnt lgkmcnt(0)
	s_add_i32 s9, s17, s10
	s_max_i32 s18, s0, 0
	s_max_i32 s19, s17, 0
	v_max_i32_e32 v0, s17, v3
	s_add_i32 s9, s9, -1
	v_min_i32_e32 v0, s9, v0
	s_sub_i32 s9, s18, s19
	v_add3_u32 v4, v4, v6, v5
	s_sub_i32 s0, 0, s16
	s_max_i32 s29, s16, 0
	v_add_u32_e32 v6, s9, v0
	v_max_i32_e32 v0, s16, v2
	s_add_i32 s8, s16, s8
	s_load_dwordx8 s[16:23], s[4:5], 0x70
	s_max_i32 s28, s0, 0
	s_add_i32 s8, s8, -1
	s_load_dwordx2 s[6:7], s[4:5], 0x0
	s_load_dwordx2 s[24:25], s[4:5], 0x48
	s_load_dwordx4 s[0:3], s[4:5], 0x38
	v_min_i32_e32 v0, s8, v0
	s_sub_i32 s4, s28, s29
	s_ashr_i32 s10, s26, 31
	v_add_u32_e32 v5, s4, v0
	s_waitcnt lgkmcnt(0)
	s_mul_i32 s4, s16, s10
	s_mul_hi_u32 s5, s16, s26
	s_add_i32 s4, s5, s4
	s_mul_i32 s5, s17, s26
	s_add_i32 s5, s4, s5
	s_mul_i32 s4, s16, s26
	s_lshl_b64 s[4:5], s[4:5], 4
	s_add_u32 s11, s24, s4
	s_addc_u32 s16, s25, s5
	s_ashr_i32 s17, s27, 31
	s_mul_i32 s4, s18, s17
	s_mul_hi_u32 s5, s18, s27
	s_add_i32 s4, s5, s4
	s_mul_i32 s5, s19, s27
	v_ashrrev_i32_e32 v0, 31, v2
	v_subb_co_u32_e32 v4, vcc, v1, v4, vcc
	s_add_i32 s5, s4, s5
	s_mul_i32 s4, s18, s27
	v_mul_lo_u32 v7, s21, v2
	v_mul_lo_u32 v8, s20, v0
	v_mad_u64_u32 v[0:1], s[8:9], s20, v2, 0
	s_lshl_b64 s[4:5], s[4:5], 4
	s_add_u32 s8, s11, s4
	s_addc_u32 s4, s16, s5
	v_add3_u32 v1, v1, v8, v7
	v_mov_b32_e32 v7, s4
	v_mul_lo_u32 v8, s23, v3
	v_mul_lo_u32 v4, s22, v4
	v_mad_u64_u32 v[2:3], s[4:5], s22, v3, 0
	v_lshlrev_b64 v[0:1], 4, v[0:1]
	s_mul_i32 s4, s12, s10
	s_mul_hi_u32 s5, s12, s26
	s_add_i32 s4, s5, s4
	s_mul_i32 s5, s13, s26
	v_add_co_u32_e32 v9, vcc, s8, v0
	v_add3_u32 v3, v3, v4, v8
	s_add_i32 s5, s4, s5
	s_mul_i32 s4, s12, s26
	v_addc_co_u32_e32 v7, vcc, v7, v1, vcc
	v_lshlrev_b64 v[0:1], 4, v[2:3]
	s_lshl_b64 s[4:5], s[4:5], 4
	s_add_u32 s6, s6, s4
	v_add_co_u32_e32 v0, vcc, v9, v0
	s_addc_u32 s7, s7, s5
	s_mul_i32 s4, s14, s17
	s_mul_hi_u32 s5, s14, s27
	v_ashrrev_i32_e32 v4, 31, v5
	v_addc_co_u32_e32 v1, vcc, v7, v1, vcc
	s_add_i32 s4, s5, s4
	s_mul_i32 s5, s15, s27
	v_mul_lo_u32 v7, s0, v4
	v_mul_lo_u32 v8, s1, v5
	v_mad_u64_u32 v[4:5], s[0:1], s0, v5, 0
	s_add_i32 s5, s4, s5
	s_mul_i32 s4, s14, s27
	s_lshl_b64 s[0:1], s[4:5], 4
	s_add_u32 s4, s6, s0
	s_addc_u32 s0, s7, s1
	v_add3_u32 v5, v5, v7, v8
	v_ashrrev_i32_e32 v7, 31, v6
	v_mov_b32_e32 v8, s0
	v_mul_lo_u32 v9, s2, v7
	v_mul_lo_u32 v10, s3, v6
	v_mad_u64_u32 v[6:7], s[0:1], s2, v6, 0
	v_lshlrev_b64 v[4:5], 4, v[4:5]
	global_load_dwordx4 v[0:3], v[0:1], off
	v_add_co_u32_e32 v11, vcc, s4, v4
	v_add3_u32 v7, v7, v9, v10
	v_addc_co_u32_e32 v12, vcc, v8, v5, vcc
	v_lshlrev_b64 v[4:5], 4, v[6:7]
	s_mov_b64 s[0:1], 0
	v_add_co_u32_e32 v8, vcc, v11, v4
	v_addc_co_u32_e32 v9, vcc, v12, v5, vcc
	global_load_dwordx2 v[6:7], v[8:9], off
.LBB2_6:                                ; =>This Inner Loop Header: Depth=1
	s_waitcnt vmcnt(0)
	v_add_f64 v[4:5], v[6:7], v[0:1]
	global_atomic_cmpswap_x2 v[4:5], v[8:9], v[4:7], off glc
	s_waitcnt vmcnt(0)
	v_cmp_eq_u64_e32 vcc, v[4:5], v[6:7]
	v_mov_b32_e32 v7, v5
	s_or_b64 s[0:1], vcc, s[0:1]
	v_mov_b32_e32 v6, v4
	s_andn2_b64 exec, exec, s[0:1]
	s_cbranch_execnz .LBB2_6
; %bb.7:
	s_or_b64 exec, exec, s[0:1]
	global_load_dwordx2 v[6:7], v[8:9], off offset:8
	s_mov_b64 s[0:1], 0
.LBB2_8:                                ; =>This Inner Loop Header: Depth=1
	s_waitcnt vmcnt(0)
	v_add_f64 v[4:5], v[6:7], v[2:3]
	global_atomic_cmpswap_x2 v[0:1], v[8:9], v[4:7], off offset:8 glc
	s_waitcnt vmcnt(0)
	v_cmp_eq_u64_e32 vcc, v[0:1], v[6:7]
	v_mov_b32_e32 v7, v1
	s_or_b64 s[0:1], vcc, s[0:1]
	v_mov_b32_e32 v6, v0
	s_andn2_b64 exec, exec, s[0:1]
	s_cbranch_execnz .LBB2_8
.LBB2_9:
	s_endpgm
	.section	.rodata,"a",@progbits
	.p2align	6, 0x0
	.amdhsa_kernel _ZN2at6native12_GLOBAL__N_131replication_pad_backward_kernelIN3c107complexIdEEEEvN5torch10headeronly6detail27GenericPackedTensorAccessorINS8_14TensorAccessorINS3_8ArrayRefIlEET_Lm3ENS7_16DefaultPtrTraitsElEENS_6detail16IndexBoundsCheckILm4ElEESD_Lm4ESE_lEENS9_INSA_ISC_KSD_Lm3ESE_lEESI_SK_Lm4ESE_lEEiiii
		.amdhsa_group_segment_fixed_size 0
		.amdhsa_private_segment_fixed_size 0
		.amdhsa_kernarg_size 416
		.amdhsa_user_sgpr_count 6
		.amdhsa_user_sgpr_private_segment_buffer 1
		.amdhsa_user_sgpr_dispatch_ptr 0
		.amdhsa_user_sgpr_queue_ptr 0
		.amdhsa_user_sgpr_kernarg_segment_ptr 1
		.amdhsa_user_sgpr_dispatch_id 0
		.amdhsa_user_sgpr_flat_scratch_init 0
		.amdhsa_user_sgpr_private_segment_size 0
		.amdhsa_uses_dynamic_stack 0
		.amdhsa_system_sgpr_private_segment_wavefront_offset 0
		.amdhsa_system_sgpr_workgroup_id_x 1
		.amdhsa_system_sgpr_workgroup_id_y 1
		.amdhsa_system_sgpr_workgroup_id_z 1
		.amdhsa_system_sgpr_workgroup_info 0
		.amdhsa_system_vgpr_workitem_id 0
		.amdhsa_next_free_vgpr 13
		.amdhsa_next_free_sgpr 30
		.amdhsa_reserve_vcc 1
		.amdhsa_reserve_flat_scratch 0
		.amdhsa_float_round_mode_32 0
		.amdhsa_float_round_mode_16_64 0
		.amdhsa_float_denorm_mode_32 3
		.amdhsa_float_denorm_mode_16_64 3
		.amdhsa_dx10_clamp 1
		.amdhsa_ieee_mode 1
		.amdhsa_fp16_overflow 0
		.amdhsa_exception_fp_ieee_invalid_op 0
		.amdhsa_exception_fp_denorm_src 0
		.amdhsa_exception_fp_ieee_div_zero 0
		.amdhsa_exception_fp_ieee_overflow 0
		.amdhsa_exception_fp_ieee_underflow 0
		.amdhsa_exception_fp_ieee_inexact 0
		.amdhsa_exception_int_div_zero 0
	.end_amdhsa_kernel
	.section	.text._ZN2at6native12_GLOBAL__N_131replication_pad_backward_kernelIN3c107complexIdEEEEvN5torch10headeronly6detail27GenericPackedTensorAccessorINS8_14TensorAccessorINS3_8ArrayRefIlEET_Lm3ENS7_16DefaultPtrTraitsElEENS_6detail16IndexBoundsCheckILm4ElEESD_Lm4ESE_lEENS9_INSA_ISC_KSD_Lm3ESE_lEESI_SK_Lm4ESE_lEEiiii,"axG",@progbits,_ZN2at6native12_GLOBAL__N_131replication_pad_backward_kernelIN3c107complexIdEEEEvN5torch10headeronly6detail27GenericPackedTensorAccessorINS8_14TensorAccessorINS3_8ArrayRefIlEET_Lm3ENS7_16DefaultPtrTraitsElEENS_6detail16IndexBoundsCheckILm4ElEESD_Lm4ESE_lEENS9_INSA_ISC_KSD_Lm3ESE_lEESI_SK_Lm4ESE_lEEiiii,comdat
.Lfunc_end2:
	.size	_ZN2at6native12_GLOBAL__N_131replication_pad_backward_kernelIN3c107complexIdEEEEvN5torch10headeronly6detail27GenericPackedTensorAccessorINS8_14TensorAccessorINS3_8ArrayRefIlEET_Lm3ENS7_16DefaultPtrTraitsElEENS_6detail16IndexBoundsCheckILm4ElEESD_Lm4ESE_lEENS9_INSA_ISC_KSD_Lm3ESE_lEESI_SK_Lm4ESE_lEEiiii, .Lfunc_end2-_ZN2at6native12_GLOBAL__N_131replication_pad_backward_kernelIN3c107complexIdEEEEvN5torch10headeronly6detail27GenericPackedTensorAccessorINS8_14TensorAccessorINS3_8ArrayRefIlEET_Lm3ENS7_16DefaultPtrTraitsElEENS_6detail16IndexBoundsCheckILm4ElEESD_Lm4ESE_lEENS9_INSA_ISC_KSD_Lm3ESE_lEESI_SK_Lm4ESE_lEEiiii
                                        ; -- End function
	.set _ZN2at6native12_GLOBAL__N_131replication_pad_backward_kernelIN3c107complexIdEEEEvN5torch10headeronly6detail27GenericPackedTensorAccessorINS8_14TensorAccessorINS3_8ArrayRefIlEET_Lm3ENS7_16DefaultPtrTraitsElEENS_6detail16IndexBoundsCheckILm4ElEESD_Lm4ESE_lEENS9_INSA_ISC_KSD_Lm3ESE_lEESI_SK_Lm4ESE_lEEiiii.num_vgpr, 13
	.set _ZN2at6native12_GLOBAL__N_131replication_pad_backward_kernelIN3c107complexIdEEEEvN5torch10headeronly6detail27GenericPackedTensorAccessorINS8_14TensorAccessorINS3_8ArrayRefIlEET_Lm3ENS7_16DefaultPtrTraitsElEENS_6detail16IndexBoundsCheckILm4ElEESD_Lm4ESE_lEENS9_INSA_ISC_KSD_Lm3ESE_lEESI_SK_Lm4ESE_lEEiiii.num_agpr, 0
	.set _ZN2at6native12_GLOBAL__N_131replication_pad_backward_kernelIN3c107complexIdEEEEvN5torch10headeronly6detail27GenericPackedTensorAccessorINS8_14TensorAccessorINS3_8ArrayRefIlEET_Lm3ENS7_16DefaultPtrTraitsElEENS_6detail16IndexBoundsCheckILm4ElEESD_Lm4ESE_lEENS9_INSA_ISC_KSD_Lm3ESE_lEESI_SK_Lm4ESE_lEEiiii.numbered_sgpr, 30
	.set _ZN2at6native12_GLOBAL__N_131replication_pad_backward_kernelIN3c107complexIdEEEEvN5torch10headeronly6detail27GenericPackedTensorAccessorINS8_14TensorAccessorINS3_8ArrayRefIlEET_Lm3ENS7_16DefaultPtrTraitsElEENS_6detail16IndexBoundsCheckILm4ElEESD_Lm4ESE_lEENS9_INSA_ISC_KSD_Lm3ESE_lEESI_SK_Lm4ESE_lEEiiii.num_named_barrier, 0
	.set _ZN2at6native12_GLOBAL__N_131replication_pad_backward_kernelIN3c107complexIdEEEEvN5torch10headeronly6detail27GenericPackedTensorAccessorINS8_14TensorAccessorINS3_8ArrayRefIlEET_Lm3ENS7_16DefaultPtrTraitsElEENS_6detail16IndexBoundsCheckILm4ElEESD_Lm4ESE_lEENS9_INSA_ISC_KSD_Lm3ESE_lEESI_SK_Lm4ESE_lEEiiii.private_seg_size, 0
	.set _ZN2at6native12_GLOBAL__N_131replication_pad_backward_kernelIN3c107complexIdEEEEvN5torch10headeronly6detail27GenericPackedTensorAccessorINS8_14TensorAccessorINS3_8ArrayRefIlEET_Lm3ENS7_16DefaultPtrTraitsElEENS_6detail16IndexBoundsCheckILm4ElEESD_Lm4ESE_lEENS9_INSA_ISC_KSD_Lm3ESE_lEESI_SK_Lm4ESE_lEEiiii.uses_vcc, 1
	.set _ZN2at6native12_GLOBAL__N_131replication_pad_backward_kernelIN3c107complexIdEEEEvN5torch10headeronly6detail27GenericPackedTensorAccessorINS8_14TensorAccessorINS3_8ArrayRefIlEET_Lm3ENS7_16DefaultPtrTraitsElEENS_6detail16IndexBoundsCheckILm4ElEESD_Lm4ESE_lEENS9_INSA_ISC_KSD_Lm3ESE_lEESI_SK_Lm4ESE_lEEiiii.uses_flat_scratch, 0
	.set _ZN2at6native12_GLOBAL__N_131replication_pad_backward_kernelIN3c107complexIdEEEEvN5torch10headeronly6detail27GenericPackedTensorAccessorINS8_14TensorAccessorINS3_8ArrayRefIlEET_Lm3ENS7_16DefaultPtrTraitsElEENS_6detail16IndexBoundsCheckILm4ElEESD_Lm4ESE_lEENS9_INSA_ISC_KSD_Lm3ESE_lEESI_SK_Lm4ESE_lEEiiii.has_dyn_sized_stack, 0
	.set _ZN2at6native12_GLOBAL__N_131replication_pad_backward_kernelIN3c107complexIdEEEEvN5torch10headeronly6detail27GenericPackedTensorAccessorINS8_14TensorAccessorINS3_8ArrayRefIlEET_Lm3ENS7_16DefaultPtrTraitsElEENS_6detail16IndexBoundsCheckILm4ElEESD_Lm4ESE_lEENS9_INSA_ISC_KSD_Lm3ESE_lEESI_SK_Lm4ESE_lEEiiii.has_recursion, 0
	.set _ZN2at6native12_GLOBAL__N_131replication_pad_backward_kernelIN3c107complexIdEEEEvN5torch10headeronly6detail27GenericPackedTensorAccessorINS8_14TensorAccessorINS3_8ArrayRefIlEET_Lm3ENS7_16DefaultPtrTraitsElEENS_6detail16IndexBoundsCheckILm4ElEESD_Lm4ESE_lEENS9_INSA_ISC_KSD_Lm3ESE_lEESI_SK_Lm4ESE_lEEiiii.has_indirect_call, 0
	.section	.AMDGPU.csdata,"",@progbits
; Kernel info:
; codeLenInByte = 1504
; TotalNumSgprs: 34
; NumVgprs: 13
; ScratchSize: 0
; MemoryBound: 0
; FloatMode: 240
; IeeeMode: 1
; LDSByteSize: 0 bytes/workgroup (compile time only)
; SGPRBlocks: 4
; VGPRBlocks: 3
; NumSGPRsForWavesPerEU: 34
; NumVGPRsForWavesPerEU: 13
; Occupancy: 10
; WaveLimiterHint : 1
; COMPUTE_PGM_RSRC2:SCRATCH_EN: 0
; COMPUTE_PGM_RSRC2:USER_SGPR: 6
; COMPUTE_PGM_RSRC2:TRAP_HANDLER: 0
; COMPUTE_PGM_RSRC2:TGID_X_EN: 1
; COMPUTE_PGM_RSRC2:TGID_Y_EN: 1
; COMPUTE_PGM_RSRC2:TGID_Z_EN: 1
; COMPUTE_PGM_RSRC2:TIDIG_COMP_CNT: 0
	.section	.text._ZN2at6native12_GLOBAL__N_131replication_pad_backward_kernelIN3c107complexIfEEEEvN5torch10headeronly6detail27GenericPackedTensorAccessorINS8_14TensorAccessorINS3_8ArrayRefIlEET_Lm3ENS7_16DefaultPtrTraitsElEENS_6detail16IndexBoundsCheckILm4ElEESD_Lm4ESE_lEENS9_INSA_ISC_KSD_Lm3ESE_lEESI_SK_Lm4ESE_lEEiiii,"axG",@progbits,_ZN2at6native12_GLOBAL__N_131replication_pad_backward_kernelIN3c107complexIfEEEEvN5torch10headeronly6detail27GenericPackedTensorAccessorINS8_14TensorAccessorINS3_8ArrayRefIlEET_Lm3ENS7_16DefaultPtrTraitsElEENS_6detail16IndexBoundsCheckILm4ElEESD_Lm4ESE_lEENS9_INSA_ISC_KSD_Lm3ESE_lEESI_SK_Lm4ESE_lEEiiii,comdat
	.globl	_ZN2at6native12_GLOBAL__N_131replication_pad_backward_kernelIN3c107complexIfEEEEvN5torch10headeronly6detail27GenericPackedTensorAccessorINS8_14TensorAccessorINS3_8ArrayRefIlEET_Lm3ENS7_16DefaultPtrTraitsElEENS_6detail16IndexBoundsCheckILm4ElEESD_Lm4ESE_lEENS9_INSA_ISC_KSD_Lm3ESE_lEESI_SK_Lm4ESE_lEEiiii ; -- Begin function _ZN2at6native12_GLOBAL__N_131replication_pad_backward_kernelIN3c107complexIfEEEEvN5torch10headeronly6detail27GenericPackedTensorAccessorINS8_14TensorAccessorINS3_8ArrayRefIlEET_Lm3ENS7_16DefaultPtrTraitsElEENS_6detail16IndexBoundsCheckILm4ElEESD_Lm4ESE_lEENS9_INSA_ISC_KSD_Lm3ESE_lEESI_SK_Lm4ESE_lEEiiii
	.p2align	8
	.type	_ZN2at6native12_GLOBAL__N_131replication_pad_backward_kernelIN3c107complexIfEEEEvN5torch10headeronly6detail27GenericPackedTensorAccessorINS8_14TensorAccessorINS3_8ArrayRefIlEET_Lm3ENS7_16DefaultPtrTraitsElEENS_6detail16IndexBoundsCheckILm4ElEESD_Lm4ESE_lEENS9_INSA_ISC_KSD_Lm3ESE_lEESI_SK_Lm4ESE_lEEiiii,@function
_ZN2at6native12_GLOBAL__N_131replication_pad_backward_kernelIN3c107complexIfEEEEvN5torch10headeronly6detail27GenericPackedTensorAccessorINS8_14TensorAccessorINS3_8ArrayRefIlEET_Lm3ENS7_16DefaultPtrTraitsElEENS_6detail16IndexBoundsCheckILm4ElEESD_Lm4ESE_lEENS9_INSA_ISC_KSD_Lm3ESE_lEESI_SK_Lm4ESE_lEEiiii: ; @_ZN2at6native12_GLOBAL__N_131replication_pad_backward_kernelIN3c107complexIfEEEEvN5torch10headeronly6detail27GenericPackedTensorAccessorINS8_14TensorAccessorINS3_8ArrayRefIlEET_Lm3ENS7_16DefaultPtrTraitsElEENS_6detail16IndexBoundsCheckILm4ElEESD_Lm4ESE_lEENS9_INSA_ISC_KSD_Lm3ESE_lEESI_SK_Lm4ESE_lEEiiii
; %bb.0:
	s_load_dword s9, s[4:5], 0xac
	s_load_dwordx4 s[0:3], s[4:5], 0x60
	s_waitcnt lgkmcnt(0)
	s_and_b32 s9, s9, 0xffff
	s_mul_i32 s6, s6, s9
	v_add_u32_e32 v0, s6, v0
	s_mul_i32 s1, s2, s1
	s_mul_hi_u32 s6, s2, s0
	s_add_i32 s1, s6, s1
	s_mul_i32 s6, s3, s0
	v_ashrrev_i32_e32 v1, 31, v0
	s_add_i32 s1, s1, s6
	s_mul_i32 s0, s2, s0
	v_cmp_gt_i64_e32 vcc, s[0:1], v[0:1]
	s_and_saveexec_b64 s[0:1], vcc
	s_cbranch_execz .LBB3_9
; %bb.1:
	v_or_b32_e32 v3, s3, v1
	v_mov_b32_e32 v2, 0
	v_cmp_ne_u64_e32 vcc, 0, v[2:3]
                                        ; implicit-def: $vgpr2_vgpr3
	s_and_saveexec_b64 s[0:1], vcc
	s_xor_b64 s[10:11], exec, s[0:1]
	s_cbranch_execz .LBB3_3
; %bb.2:
	s_ashr_i32 s12, s3, 31
	s_add_u32 s0, s2, s12
	s_mov_b32 s13, s12
	s_addc_u32 s1, s3, s12
	s_xor_b64 s[14:15], s[0:1], s[12:13]
	v_cvt_f32_u32_e32 v2, s14
	v_cvt_f32_u32_e32 v3, s15
	s_sub_u32 s6, 0, s14
	s_subb_u32 s9, 0, s15
	v_ashrrev_i32_e32 v6, 31, v1
	v_madmk_f32 v2, v3, 0x4f800000, v2
	v_rcp_f32_e32 v2, v2
	v_mul_f32_e32 v2, 0x5f7ffffc, v2
	v_mul_f32_e32 v3, 0x2f800000, v2
	v_trunc_f32_e32 v3, v3
	v_madmk_f32 v2, v3, 0xcf800000, v2
	v_cvt_u32_f32_e32 v3, v3
	v_cvt_u32_f32_e32 v2, v2
	v_readfirstlane_b32 s13, v3
	v_readfirstlane_b32 s0, v2
	s_mul_i32 s1, s6, s13
	s_mul_hi_u32 s17, s6, s0
	s_mul_i32 s16, s9, s0
	s_add_i32 s1, s17, s1
	s_add_i32 s1, s1, s16
	s_mul_i32 s18, s6, s0
	s_mul_i32 s17, s0, s1
	s_mul_hi_u32 s19, s0, s18
	s_mul_hi_u32 s16, s0, s1
	s_add_u32 s17, s19, s17
	s_addc_u32 s16, 0, s16
	s_mul_hi_u32 s20, s13, s18
	s_mul_i32 s18, s13, s18
	s_add_u32 s17, s17, s18
	s_mul_hi_u32 s19, s13, s1
	s_addc_u32 s16, s16, s20
	s_addc_u32 s17, s19, 0
	s_mul_i32 s1, s13, s1
	s_add_u32 s1, s16, s1
	s_addc_u32 s16, 0, s17
	s_add_u32 s17, s0, s1
	s_cselect_b64 s[0:1], -1, 0
	s_cmp_lg_u64 s[0:1], 0
	s_addc_u32 s13, s13, s16
	s_mul_i32 s0, s6, s13
	s_mul_hi_u32 s1, s6, s17
	s_add_i32 s0, s1, s0
	s_mul_i32 s9, s9, s17
	s_add_i32 s0, s0, s9
	s_mul_i32 s6, s6, s17
	s_mul_hi_u32 s9, s13, s6
	s_mul_i32 s16, s13, s6
	s_mul_i32 s19, s17, s0
	s_mul_hi_u32 s6, s17, s6
	s_mul_hi_u32 s18, s17, s0
	s_add_u32 s6, s6, s19
	s_addc_u32 s18, 0, s18
	s_add_u32 s6, s6, s16
	s_mul_hi_u32 s1, s13, s0
	s_addc_u32 s6, s18, s9
	s_addc_u32 s1, s1, 0
	s_mul_i32 s0, s13, s0
	s_add_u32 s0, s6, s0
	s_addc_u32 s6, 0, s1
	s_add_u32 s9, s17, s0
	s_cselect_b64 s[0:1], -1, 0
	s_cmp_lg_u64 s[0:1], 0
	v_add_co_u32_e32 v2, vcc, v0, v6
	s_addc_u32 s6, s13, s6
	v_xor_b32_e32 v7, v2, v6
	v_mad_u64_u32 v[2:3], s[0:1], v7, s6, 0
	v_mul_hi_u32 v5, v7, s9
	v_addc_co_u32_e32 v4, vcc, v1, v6, vcc
	v_xor_b32_e32 v8, v4, v6
	v_add_co_u32_e32 v9, vcc, v5, v2
	v_addc_co_u32_e32 v10, vcc, 0, v3, vcc
	v_mad_u64_u32 v[2:3], s[0:1], v8, s9, 0
	v_mad_u64_u32 v[4:5], s[0:1], v8, s6, 0
	v_add_co_u32_e32 v2, vcc, v9, v2
	v_addc_co_u32_e32 v2, vcc, v10, v3, vcc
	v_addc_co_u32_e32 v3, vcc, 0, v5, vcc
	v_add_co_u32_e32 v4, vcc, v2, v4
	v_addc_co_u32_e32 v5, vcc, 0, v3, vcc
	v_mul_lo_u32 v9, s15, v4
	v_mul_lo_u32 v10, s14, v5
	v_mad_u64_u32 v[2:3], s[0:1], s14, v4, 0
	v_add3_u32 v3, v3, v10, v9
	v_sub_u32_e32 v9, v8, v3
	v_mov_b32_e32 v10, s15
	v_sub_co_u32_e32 v2, vcc, v7, v2
	v_subb_co_u32_e64 v7, s[0:1], v9, v10, vcc
	v_subrev_co_u32_e64 v9, s[0:1], s14, v2
	v_subbrev_co_u32_e64 v7, s[0:1], 0, v7, s[0:1]
	v_cmp_le_u32_e64 s[0:1], s15, v7
	v_cndmask_b32_e64 v10, 0, -1, s[0:1]
	v_cmp_le_u32_e64 s[0:1], s14, v9
	v_cndmask_b32_e64 v9, 0, -1, s[0:1]
	v_cmp_eq_u32_e64 s[0:1], s15, v7
	v_cndmask_b32_e64 v7, v10, v9, s[0:1]
	v_add_co_u32_e64 v9, s[0:1], 2, v4
	v_subb_co_u32_e32 v3, vcc, v8, v3, vcc
	v_addc_co_u32_e64 v10, s[0:1], 0, v5, s[0:1]
	v_cmp_le_u32_e32 vcc, s15, v3
	v_add_co_u32_e64 v11, s[0:1], 1, v4
	v_cndmask_b32_e64 v8, 0, -1, vcc
	v_cmp_le_u32_e32 vcc, s14, v2
	v_addc_co_u32_e64 v12, s[0:1], 0, v5, s[0:1]
	v_cndmask_b32_e64 v2, 0, -1, vcc
	v_cmp_eq_u32_e32 vcc, s15, v3
	v_cmp_ne_u32_e64 s[0:1], 0, v7
	v_cndmask_b32_e32 v2, v8, v2, vcc
	v_cndmask_b32_e64 v7, v12, v10, s[0:1]
	v_cmp_ne_u32_e32 vcc, 0, v2
	v_cndmask_b32_e64 v3, v11, v9, s[0:1]
	v_cndmask_b32_e32 v2, v5, v7, vcc
	v_cndmask_b32_e32 v3, v4, v3, vcc
	v_xor_b32_e32 v4, s12, v6
	v_xor_b32_e32 v5, v2, v4
	;; [unrolled: 1-line block ×3, first 2 shown]
	v_sub_co_u32_e32 v2, vcc, v2, v4
	v_subb_co_u32_e32 v3, vcc, v5, v4, vcc
.LBB3_3:
	s_andn2_saveexec_b64 s[0:1], s[10:11]
	s_cbranch_execz .LBB3_5
; %bb.4:
	v_cvt_f32_u32_e32 v2, s2
	s_sub_i32 s6, 0, s2
	v_rcp_iflag_f32_e32 v2, v2
	v_mul_f32_e32 v2, 0x4f7ffffe, v2
	v_cvt_u32_f32_e32 v2, v2
	v_mul_lo_u32 v3, s6, v2
	v_mul_hi_u32 v3, v2, v3
	v_add_u32_e32 v2, v2, v3
	v_mul_hi_u32 v2, v0, v2
	v_mul_lo_u32 v3, v2, s2
	v_add_u32_e32 v4, 1, v2
	v_sub_u32_e32 v3, v0, v3
	v_subrev_u32_e32 v5, s2, v3
	v_cmp_le_u32_e32 vcc, s2, v3
	v_cndmask_b32_e32 v3, v3, v5, vcc
	v_cndmask_b32_e32 v2, v2, v4, vcc
	v_add_u32_e32 v4, 1, v2
	v_cmp_le_u32_e32 vcc, s2, v3
	v_cndmask_b32_e32 v2, v2, v4, vcc
	v_mov_b32_e32 v3, 0
.LBB3_5:
	s_or_b64 exec, exec, s[0:1]
	s_load_dwordx4 s[16:19], s[4:5], 0x90
	v_mul_lo_u32 v5, v3, s2
	v_mad_u64_u32 v[3:4], s[0:1], v2, s2, 0
	v_mul_lo_u32 v6, v2, s3
	s_waitcnt lgkmcnt(0)
	s_add_i32 s26, s19, s8
	s_load_dwordx8 s[8:15], s[4:5], 0x18
	v_sub_co_u32_e32 v3, vcc, v0, v3
	s_sub_i32 s0, 0, s17
	s_add_i32 s27, s18, s7
	s_waitcnt lgkmcnt(0)
	s_add_i32 s9, s17, s10
	s_max_i32 s18, s0, 0
	s_max_i32 s19, s17, 0
	v_max_i32_e32 v0, s17, v3
	s_add_i32 s9, s9, -1
	v_min_i32_e32 v0, s9, v0
	s_sub_i32 s9, s18, s19
	v_add3_u32 v4, v4, v6, v5
	s_sub_i32 s0, 0, s16
	s_max_i32 s29, s16, 0
	v_add_u32_e32 v5, s9, v0
	v_max_i32_e32 v0, s16, v2
	s_add_i32 s8, s16, s8
	s_load_dwordx8 s[16:23], s[4:5], 0x70
	s_max_i32 s28, s0, 0
	s_add_i32 s8, s8, -1
	s_load_dwordx2 s[6:7], s[4:5], 0x0
	s_load_dwordx2 s[24:25], s[4:5], 0x48
	s_load_dwordx4 s[0:3], s[4:5], 0x38
	v_min_i32_e32 v0, s8, v0
	s_sub_i32 s4, s28, s29
	s_ashr_i32 s10, s26, 31
	v_add_u32_e32 v6, s4, v0
	s_waitcnt lgkmcnt(0)
	s_mul_i32 s4, s16, s10
	s_mul_hi_u32 s5, s16, s26
	s_add_i32 s4, s5, s4
	s_mul_i32 s5, s17, s26
	s_add_i32 s5, s4, s5
	s_mul_i32 s4, s16, s26
	s_lshl_b64 s[4:5], s[4:5], 3
	s_add_u32 s11, s24, s4
	s_addc_u32 s16, s25, s5
	s_ashr_i32 s17, s27, 31
	s_mul_i32 s4, s18, s17
	s_mul_hi_u32 s5, s18, s27
	s_add_i32 s4, s5, s4
	s_mul_i32 s5, s19, s27
	v_ashrrev_i32_e32 v0, 31, v2
	v_subb_co_u32_e32 v4, vcc, v1, v4, vcc
	s_add_i32 s5, s4, s5
	s_mul_i32 s4, s18, s27
	v_mul_lo_u32 v7, s21, v2
	v_mul_lo_u32 v8, s20, v0
	v_mad_u64_u32 v[0:1], s[8:9], s20, v2, 0
	s_lshl_b64 s[4:5], s[4:5], 3
	s_add_u32 s8, s11, s4
	s_addc_u32 s4, s16, s5
	v_add3_u32 v1, v1, v8, v7
	v_mov_b32_e32 v7, s4
	v_mul_lo_u32 v8, s23, v3
	v_mul_lo_u32 v4, s22, v4
	v_mad_u64_u32 v[2:3], s[4:5], s22, v3, 0
	v_lshlrev_b64 v[0:1], 3, v[0:1]
	s_mul_i32 s4, s12, s10
	s_mul_hi_u32 s5, s12, s26
	s_add_i32 s4, s5, s4
	s_mul_i32 s5, s13, s26
	v_add_co_u32_e32 v9, vcc, s8, v0
	v_add3_u32 v3, v3, v4, v8
	s_add_i32 s5, s4, s5
	s_mul_i32 s4, s12, s26
	v_addc_co_u32_e32 v7, vcc, v7, v1, vcc
	v_lshlrev_b64 v[0:1], 3, v[2:3]
	s_lshl_b64 s[4:5], s[4:5], 3
	s_add_u32 s6, s6, s4
	v_add_co_u32_e32 v0, vcc, v9, v0
	s_addc_u32 s7, s7, s5
	s_mul_i32 s4, s14, s17
	s_mul_hi_u32 s5, s14, s27
	v_ashrrev_i32_e32 v2, 31, v6
	v_addc_co_u32_e32 v1, vcc, v7, v1, vcc
	s_add_i32 s4, s5, s4
	s_mul_i32 s5, s15, s27
	v_mul_lo_u32 v4, s0, v2
	v_mul_lo_u32 v7, s1, v6
	v_mad_u64_u32 v[2:3], s[0:1], s0, v6, 0
	s_add_i32 s5, s4, s5
	s_mul_i32 s4, s14, s27
	s_lshl_b64 s[0:1], s[4:5], 3
	s_add_u32 s4, s6, s0
	s_addc_u32 s0, s7, s1
	v_add3_u32 v3, v3, v4, v7
	v_ashrrev_i32_e32 v4, 31, v5
	v_mov_b32_e32 v6, s0
	v_mul_lo_u32 v7, s2, v4
	v_mul_lo_u32 v8, s3, v5
	v_mad_u64_u32 v[4:5], s[0:1], s2, v5, 0
	v_lshlrev_b64 v[2:3], 3, v[2:3]
	global_load_dwordx2 v[0:1], v[0:1], off
	v_add_co_u32_e32 v9, vcc, s4, v2
	v_add3_u32 v5, v5, v7, v8
	v_addc_co_u32_e32 v6, vcc, v6, v3, vcc
	v_lshlrev_b64 v[2:3], 3, v[4:5]
	s_mov_b64 s[0:1], 0
	v_add_co_u32_e32 v2, vcc, v9, v2
	v_addc_co_u32_e32 v3, vcc, v6, v3, vcc
	global_load_dword v5, v[2:3], off
.LBB3_6:                                ; =>This Inner Loop Header: Depth=1
	s_waitcnt vmcnt(0)
	v_add_f32_e32 v4, v5, v0
	global_atomic_cmpswap v4, v[2:3], v[4:5], off glc
	s_waitcnt vmcnt(0)
	v_cmp_eq_u32_e32 vcc, v4, v5
	s_or_b64 s[0:1], vcc, s[0:1]
	v_mov_b32_e32 v5, v4
	s_andn2_b64 exec, exec, s[0:1]
	s_cbranch_execnz .LBB3_6
; %bb.7:
	s_or_b64 exec, exec, s[0:1]
	global_load_dword v5, v[2:3], off offset:4
	s_mov_b64 s[0:1], 0
.LBB3_8:                                ; =>This Inner Loop Header: Depth=1
	s_waitcnt vmcnt(0)
	v_add_f32_e32 v4, v5, v1
	global_atomic_cmpswap v0, v[2:3], v[4:5], off offset:4 glc
	s_waitcnt vmcnt(0)
	v_cmp_eq_u32_e32 vcc, v0, v5
	s_or_b64 s[0:1], vcc, s[0:1]
	v_mov_b32_e32 v5, v0
	s_andn2_b64 exec, exec, s[0:1]
	s_cbranch_execnz .LBB3_8
.LBB3_9:
	s_endpgm
	.section	.rodata,"a",@progbits
	.p2align	6, 0x0
	.amdhsa_kernel _ZN2at6native12_GLOBAL__N_131replication_pad_backward_kernelIN3c107complexIfEEEEvN5torch10headeronly6detail27GenericPackedTensorAccessorINS8_14TensorAccessorINS3_8ArrayRefIlEET_Lm3ENS7_16DefaultPtrTraitsElEENS_6detail16IndexBoundsCheckILm4ElEESD_Lm4ESE_lEENS9_INSA_ISC_KSD_Lm3ESE_lEESI_SK_Lm4ESE_lEEiiii
		.amdhsa_group_segment_fixed_size 0
		.amdhsa_private_segment_fixed_size 0
		.amdhsa_kernarg_size 416
		.amdhsa_user_sgpr_count 6
		.amdhsa_user_sgpr_private_segment_buffer 1
		.amdhsa_user_sgpr_dispatch_ptr 0
		.amdhsa_user_sgpr_queue_ptr 0
		.amdhsa_user_sgpr_kernarg_segment_ptr 1
		.amdhsa_user_sgpr_dispatch_id 0
		.amdhsa_user_sgpr_flat_scratch_init 0
		.amdhsa_user_sgpr_private_segment_size 0
		.amdhsa_uses_dynamic_stack 0
		.amdhsa_system_sgpr_private_segment_wavefront_offset 0
		.amdhsa_system_sgpr_workgroup_id_x 1
		.amdhsa_system_sgpr_workgroup_id_y 1
		.amdhsa_system_sgpr_workgroup_id_z 1
		.amdhsa_system_sgpr_workgroup_info 0
		.amdhsa_system_vgpr_workitem_id 0
		.amdhsa_next_free_vgpr 13
		.amdhsa_next_free_sgpr 30
		.amdhsa_reserve_vcc 1
		.amdhsa_reserve_flat_scratch 0
		.amdhsa_float_round_mode_32 0
		.amdhsa_float_round_mode_16_64 0
		.amdhsa_float_denorm_mode_32 3
		.amdhsa_float_denorm_mode_16_64 3
		.amdhsa_dx10_clamp 1
		.amdhsa_ieee_mode 1
		.amdhsa_fp16_overflow 0
		.amdhsa_exception_fp_ieee_invalid_op 0
		.amdhsa_exception_fp_denorm_src 0
		.amdhsa_exception_fp_ieee_div_zero 0
		.amdhsa_exception_fp_ieee_overflow 0
		.amdhsa_exception_fp_ieee_underflow 0
		.amdhsa_exception_fp_ieee_inexact 0
		.amdhsa_exception_int_div_zero 0
	.end_amdhsa_kernel
	.section	.text._ZN2at6native12_GLOBAL__N_131replication_pad_backward_kernelIN3c107complexIfEEEEvN5torch10headeronly6detail27GenericPackedTensorAccessorINS8_14TensorAccessorINS3_8ArrayRefIlEET_Lm3ENS7_16DefaultPtrTraitsElEENS_6detail16IndexBoundsCheckILm4ElEESD_Lm4ESE_lEENS9_INSA_ISC_KSD_Lm3ESE_lEESI_SK_Lm4ESE_lEEiiii,"axG",@progbits,_ZN2at6native12_GLOBAL__N_131replication_pad_backward_kernelIN3c107complexIfEEEEvN5torch10headeronly6detail27GenericPackedTensorAccessorINS8_14TensorAccessorINS3_8ArrayRefIlEET_Lm3ENS7_16DefaultPtrTraitsElEENS_6detail16IndexBoundsCheckILm4ElEESD_Lm4ESE_lEENS9_INSA_ISC_KSD_Lm3ESE_lEESI_SK_Lm4ESE_lEEiiii,comdat
.Lfunc_end3:
	.size	_ZN2at6native12_GLOBAL__N_131replication_pad_backward_kernelIN3c107complexIfEEEEvN5torch10headeronly6detail27GenericPackedTensorAccessorINS8_14TensorAccessorINS3_8ArrayRefIlEET_Lm3ENS7_16DefaultPtrTraitsElEENS_6detail16IndexBoundsCheckILm4ElEESD_Lm4ESE_lEENS9_INSA_ISC_KSD_Lm3ESE_lEESI_SK_Lm4ESE_lEEiiii, .Lfunc_end3-_ZN2at6native12_GLOBAL__N_131replication_pad_backward_kernelIN3c107complexIfEEEEvN5torch10headeronly6detail27GenericPackedTensorAccessorINS8_14TensorAccessorINS3_8ArrayRefIlEET_Lm3ENS7_16DefaultPtrTraitsElEENS_6detail16IndexBoundsCheckILm4ElEESD_Lm4ESE_lEENS9_INSA_ISC_KSD_Lm3ESE_lEESI_SK_Lm4ESE_lEEiiii
                                        ; -- End function
	.set _ZN2at6native12_GLOBAL__N_131replication_pad_backward_kernelIN3c107complexIfEEEEvN5torch10headeronly6detail27GenericPackedTensorAccessorINS8_14TensorAccessorINS3_8ArrayRefIlEET_Lm3ENS7_16DefaultPtrTraitsElEENS_6detail16IndexBoundsCheckILm4ElEESD_Lm4ESE_lEENS9_INSA_ISC_KSD_Lm3ESE_lEESI_SK_Lm4ESE_lEEiiii.num_vgpr, 13
	.set _ZN2at6native12_GLOBAL__N_131replication_pad_backward_kernelIN3c107complexIfEEEEvN5torch10headeronly6detail27GenericPackedTensorAccessorINS8_14TensorAccessorINS3_8ArrayRefIlEET_Lm3ENS7_16DefaultPtrTraitsElEENS_6detail16IndexBoundsCheckILm4ElEESD_Lm4ESE_lEENS9_INSA_ISC_KSD_Lm3ESE_lEESI_SK_Lm4ESE_lEEiiii.num_agpr, 0
	.set _ZN2at6native12_GLOBAL__N_131replication_pad_backward_kernelIN3c107complexIfEEEEvN5torch10headeronly6detail27GenericPackedTensorAccessorINS8_14TensorAccessorINS3_8ArrayRefIlEET_Lm3ENS7_16DefaultPtrTraitsElEENS_6detail16IndexBoundsCheckILm4ElEESD_Lm4ESE_lEENS9_INSA_ISC_KSD_Lm3ESE_lEESI_SK_Lm4ESE_lEEiiii.numbered_sgpr, 30
	.set _ZN2at6native12_GLOBAL__N_131replication_pad_backward_kernelIN3c107complexIfEEEEvN5torch10headeronly6detail27GenericPackedTensorAccessorINS8_14TensorAccessorINS3_8ArrayRefIlEET_Lm3ENS7_16DefaultPtrTraitsElEENS_6detail16IndexBoundsCheckILm4ElEESD_Lm4ESE_lEENS9_INSA_ISC_KSD_Lm3ESE_lEESI_SK_Lm4ESE_lEEiiii.num_named_barrier, 0
	.set _ZN2at6native12_GLOBAL__N_131replication_pad_backward_kernelIN3c107complexIfEEEEvN5torch10headeronly6detail27GenericPackedTensorAccessorINS8_14TensorAccessorINS3_8ArrayRefIlEET_Lm3ENS7_16DefaultPtrTraitsElEENS_6detail16IndexBoundsCheckILm4ElEESD_Lm4ESE_lEENS9_INSA_ISC_KSD_Lm3ESE_lEESI_SK_Lm4ESE_lEEiiii.private_seg_size, 0
	.set _ZN2at6native12_GLOBAL__N_131replication_pad_backward_kernelIN3c107complexIfEEEEvN5torch10headeronly6detail27GenericPackedTensorAccessorINS8_14TensorAccessorINS3_8ArrayRefIlEET_Lm3ENS7_16DefaultPtrTraitsElEENS_6detail16IndexBoundsCheckILm4ElEESD_Lm4ESE_lEENS9_INSA_ISC_KSD_Lm3ESE_lEESI_SK_Lm4ESE_lEEiiii.uses_vcc, 1
	.set _ZN2at6native12_GLOBAL__N_131replication_pad_backward_kernelIN3c107complexIfEEEEvN5torch10headeronly6detail27GenericPackedTensorAccessorINS8_14TensorAccessorINS3_8ArrayRefIlEET_Lm3ENS7_16DefaultPtrTraitsElEENS_6detail16IndexBoundsCheckILm4ElEESD_Lm4ESE_lEENS9_INSA_ISC_KSD_Lm3ESE_lEESI_SK_Lm4ESE_lEEiiii.uses_flat_scratch, 0
	.set _ZN2at6native12_GLOBAL__N_131replication_pad_backward_kernelIN3c107complexIfEEEEvN5torch10headeronly6detail27GenericPackedTensorAccessorINS8_14TensorAccessorINS3_8ArrayRefIlEET_Lm3ENS7_16DefaultPtrTraitsElEENS_6detail16IndexBoundsCheckILm4ElEESD_Lm4ESE_lEENS9_INSA_ISC_KSD_Lm3ESE_lEESI_SK_Lm4ESE_lEEiiii.has_dyn_sized_stack, 0
	.set _ZN2at6native12_GLOBAL__N_131replication_pad_backward_kernelIN3c107complexIfEEEEvN5torch10headeronly6detail27GenericPackedTensorAccessorINS8_14TensorAccessorINS3_8ArrayRefIlEET_Lm3ENS7_16DefaultPtrTraitsElEENS_6detail16IndexBoundsCheckILm4ElEESD_Lm4ESE_lEENS9_INSA_ISC_KSD_Lm3ESE_lEESI_SK_Lm4ESE_lEEiiii.has_recursion, 0
	.set _ZN2at6native12_GLOBAL__N_131replication_pad_backward_kernelIN3c107complexIfEEEEvN5torch10headeronly6detail27GenericPackedTensorAccessorINS8_14TensorAccessorINS3_8ArrayRefIlEET_Lm3ENS7_16DefaultPtrTraitsElEENS_6detail16IndexBoundsCheckILm4ElEESD_Lm4ESE_lEENS9_INSA_ISC_KSD_Lm3ESE_lEESI_SK_Lm4ESE_lEEiiii.has_indirect_call, 0
	.section	.AMDGPU.csdata,"",@progbits
; Kernel info:
; codeLenInByte = 1488
; TotalNumSgprs: 34
; NumVgprs: 13
; ScratchSize: 0
; MemoryBound: 0
; FloatMode: 240
; IeeeMode: 1
; LDSByteSize: 0 bytes/workgroup (compile time only)
; SGPRBlocks: 4
; VGPRBlocks: 3
; NumSGPRsForWavesPerEU: 34
; NumVGPRsForWavesPerEU: 13
; Occupancy: 10
; WaveLimiterHint : 1
; COMPUTE_PGM_RSRC2:SCRATCH_EN: 0
; COMPUTE_PGM_RSRC2:USER_SGPR: 6
; COMPUTE_PGM_RSRC2:TRAP_HANDLER: 0
; COMPUTE_PGM_RSRC2:TGID_X_EN: 1
; COMPUTE_PGM_RSRC2:TGID_Y_EN: 1
; COMPUTE_PGM_RSRC2:TGID_Z_EN: 1
; COMPUTE_PGM_RSRC2:TIDIG_COMP_CNT: 0
	.section	.text._ZN2at6native12_GLOBAL__N_131replication_pad_backward_kernelIN3c104HalfEEEvN5torch10headeronly6detail27GenericPackedTensorAccessorINS7_14TensorAccessorINS3_8ArrayRefIlEET_Lm3ENS6_16DefaultPtrTraitsElEENS_6detail16IndexBoundsCheckILm4ElEESC_Lm4ESD_lEENS8_INS9_ISB_KSC_Lm3ESD_lEESH_SJ_Lm4ESD_lEEiiii,"axG",@progbits,_ZN2at6native12_GLOBAL__N_131replication_pad_backward_kernelIN3c104HalfEEEvN5torch10headeronly6detail27GenericPackedTensorAccessorINS7_14TensorAccessorINS3_8ArrayRefIlEET_Lm3ENS6_16DefaultPtrTraitsElEENS_6detail16IndexBoundsCheckILm4ElEESC_Lm4ESD_lEENS8_INS9_ISB_KSC_Lm3ESD_lEESH_SJ_Lm4ESD_lEEiiii,comdat
	.globl	_ZN2at6native12_GLOBAL__N_131replication_pad_backward_kernelIN3c104HalfEEEvN5torch10headeronly6detail27GenericPackedTensorAccessorINS7_14TensorAccessorINS3_8ArrayRefIlEET_Lm3ENS6_16DefaultPtrTraitsElEENS_6detail16IndexBoundsCheckILm4ElEESC_Lm4ESD_lEENS8_INS9_ISB_KSC_Lm3ESD_lEESH_SJ_Lm4ESD_lEEiiii ; -- Begin function _ZN2at6native12_GLOBAL__N_131replication_pad_backward_kernelIN3c104HalfEEEvN5torch10headeronly6detail27GenericPackedTensorAccessorINS7_14TensorAccessorINS3_8ArrayRefIlEET_Lm3ENS6_16DefaultPtrTraitsElEENS_6detail16IndexBoundsCheckILm4ElEESC_Lm4ESD_lEENS8_INS9_ISB_KSC_Lm3ESD_lEESH_SJ_Lm4ESD_lEEiiii
	.p2align	8
	.type	_ZN2at6native12_GLOBAL__N_131replication_pad_backward_kernelIN3c104HalfEEEvN5torch10headeronly6detail27GenericPackedTensorAccessorINS7_14TensorAccessorINS3_8ArrayRefIlEET_Lm3ENS6_16DefaultPtrTraitsElEENS_6detail16IndexBoundsCheckILm4ElEESC_Lm4ESD_lEENS8_INS9_ISB_KSC_Lm3ESD_lEESH_SJ_Lm4ESD_lEEiiii,@function
_ZN2at6native12_GLOBAL__N_131replication_pad_backward_kernelIN3c104HalfEEEvN5torch10headeronly6detail27GenericPackedTensorAccessorINS7_14TensorAccessorINS3_8ArrayRefIlEET_Lm3ENS6_16DefaultPtrTraitsElEENS_6detail16IndexBoundsCheckILm4ElEESC_Lm4ESD_lEENS8_INS9_ISB_KSC_Lm3ESD_lEESH_SJ_Lm4ESD_lEEiiii: ; @_ZN2at6native12_GLOBAL__N_131replication_pad_backward_kernelIN3c104HalfEEEvN5torch10headeronly6detail27GenericPackedTensorAccessorINS7_14TensorAccessorINS3_8ArrayRefIlEET_Lm3ENS6_16DefaultPtrTraitsElEENS_6detail16IndexBoundsCheckILm4ElEESC_Lm4ESD_lEENS8_INS9_ISB_KSC_Lm3ESD_lEESH_SJ_Lm4ESD_lEEiiii
; %bb.0:
	s_load_dword s9, s[4:5], 0xac
	s_load_dwordx4 s[0:3], s[4:5], 0x60
	s_waitcnt lgkmcnt(0)
	s_and_b32 s9, s9, 0xffff
	s_mul_i32 s6, s6, s9
	v_add_u32_e32 v0, s6, v0
	s_mul_i32 s1, s2, s1
	s_mul_hi_u32 s6, s2, s0
	s_add_i32 s1, s6, s1
	s_mul_i32 s6, s3, s0
	v_ashrrev_i32_e32 v1, 31, v0
	s_add_i32 s1, s1, s6
	s_mul_i32 s0, s2, s0
	v_cmp_gt_i64_e32 vcc, s[0:1], v[0:1]
	s_and_saveexec_b64 s[0:1], vcc
	s_cbranch_execz .LBB4_11
; %bb.1:
	v_or_b32_e32 v3, s3, v1
	v_mov_b32_e32 v2, 0
	v_cmp_ne_u64_e32 vcc, 0, v[2:3]
                                        ; implicit-def: $vgpr2_vgpr3
	s_and_saveexec_b64 s[0:1], vcc
	s_xor_b64 s[10:11], exec, s[0:1]
	s_cbranch_execz .LBB4_3
; %bb.2:
	s_ashr_i32 s12, s3, 31
	s_add_u32 s0, s2, s12
	s_mov_b32 s13, s12
	s_addc_u32 s1, s3, s12
	s_xor_b64 s[14:15], s[0:1], s[12:13]
	v_cvt_f32_u32_e32 v2, s14
	v_cvt_f32_u32_e32 v3, s15
	s_sub_u32 s6, 0, s14
	s_subb_u32 s9, 0, s15
	v_ashrrev_i32_e32 v6, 31, v1
	v_madmk_f32 v2, v3, 0x4f800000, v2
	v_rcp_f32_e32 v2, v2
	v_mul_f32_e32 v2, 0x5f7ffffc, v2
	v_mul_f32_e32 v3, 0x2f800000, v2
	v_trunc_f32_e32 v3, v3
	v_madmk_f32 v2, v3, 0xcf800000, v2
	v_cvt_u32_f32_e32 v3, v3
	v_cvt_u32_f32_e32 v2, v2
	v_readfirstlane_b32 s13, v3
	v_readfirstlane_b32 s0, v2
	s_mul_i32 s1, s6, s13
	s_mul_hi_u32 s17, s6, s0
	s_mul_i32 s16, s9, s0
	s_add_i32 s1, s17, s1
	s_add_i32 s1, s1, s16
	s_mul_i32 s18, s6, s0
	s_mul_i32 s17, s0, s1
	s_mul_hi_u32 s19, s0, s18
	s_mul_hi_u32 s16, s0, s1
	s_add_u32 s17, s19, s17
	s_addc_u32 s16, 0, s16
	s_mul_hi_u32 s20, s13, s18
	s_mul_i32 s18, s13, s18
	s_add_u32 s17, s17, s18
	s_mul_hi_u32 s19, s13, s1
	s_addc_u32 s16, s16, s20
	s_addc_u32 s17, s19, 0
	s_mul_i32 s1, s13, s1
	s_add_u32 s1, s16, s1
	s_addc_u32 s16, 0, s17
	s_add_u32 s17, s0, s1
	s_cselect_b64 s[0:1], -1, 0
	s_cmp_lg_u64 s[0:1], 0
	s_addc_u32 s13, s13, s16
	s_mul_i32 s0, s6, s13
	s_mul_hi_u32 s1, s6, s17
	s_add_i32 s0, s1, s0
	s_mul_i32 s9, s9, s17
	s_add_i32 s0, s0, s9
	s_mul_i32 s6, s6, s17
	s_mul_hi_u32 s9, s13, s6
	s_mul_i32 s16, s13, s6
	s_mul_i32 s19, s17, s0
	s_mul_hi_u32 s6, s17, s6
	s_mul_hi_u32 s18, s17, s0
	s_add_u32 s6, s6, s19
	s_addc_u32 s18, 0, s18
	s_add_u32 s6, s6, s16
	s_mul_hi_u32 s1, s13, s0
	s_addc_u32 s6, s18, s9
	s_addc_u32 s1, s1, 0
	s_mul_i32 s0, s13, s0
	s_add_u32 s0, s6, s0
	s_addc_u32 s6, 0, s1
	s_add_u32 s9, s17, s0
	s_cselect_b64 s[0:1], -1, 0
	s_cmp_lg_u64 s[0:1], 0
	v_add_co_u32_e32 v2, vcc, v0, v6
	s_addc_u32 s6, s13, s6
	v_xor_b32_e32 v7, v2, v6
	v_mad_u64_u32 v[2:3], s[0:1], v7, s6, 0
	v_mul_hi_u32 v5, v7, s9
	v_addc_co_u32_e32 v4, vcc, v1, v6, vcc
	v_xor_b32_e32 v8, v4, v6
	v_add_co_u32_e32 v9, vcc, v5, v2
	v_addc_co_u32_e32 v10, vcc, 0, v3, vcc
	v_mad_u64_u32 v[2:3], s[0:1], v8, s9, 0
	v_mad_u64_u32 v[4:5], s[0:1], v8, s6, 0
	v_add_co_u32_e32 v2, vcc, v9, v2
	v_addc_co_u32_e32 v2, vcc, v10, v3, vcc
	v_addc_co_u32_e32 v3, vcc, 0, v5, vcc
	v_add_co_u32_e32 v4, vcc, v2, v4
	v_addc_co_u32_e32 v5, vcc, 0, v3, vcc
	v_mul_lo_u32 v9, s15, v4
	v_mul_lo_u32 v10, s14, v5
	v_mad_u64_u32 v[2:3], s[0:1], s14, v4, 0
	v_add3_u32 v3, v3, v10, v9
	v_sub_u32_e32 v9, v8, v3
	v_mov_b32_e32 v10, s15
	v_sub_co_u32_e32 v2, vcc, v7, v2
	v_subb_co_u32_e64 v7, s[0:1], v9, v10, vcc
	v_subrev_co_u32_e64 v9, s[0:1], s14, v2
	v_subbrev_co_u32_e64 v7, s[0:1], 0, v7, s[0:1]
	v_cmp_le_u32_e64 s[0:1], s15, v7
	v_cndmask_b32_e64 v10, 0, -1, s[0:1]
	v_cmp_le_u32_e64 s[0:1], s14, v9
	v_cndmask_b32_e64 v9, 0, -1, s[0:1]
	v_cmp_eq_u32_e64 s[0:1], s15, v7
	v_cndmask_b32_e64 v7, v10, v9, s[0:1]
	v_add_co_u32_e64 v9, s[0:1], 2, v4
	v_subb_co_u32_e32 v3, vcc, v8, v3, vcc
	v_addc_co_u32_e64 v10, s[0:1], 0, v5, s[0:1]
	v_cmp_le_u32_e32 vcc, s15, v3
	v_add_co_u32_e64 v11, s[0:1], 1, v4
	v_cndmask_b32_e64 v8, 0, -1, vcc
	v_cmp_le_u32_e32 vcc, s14, v2
	v_addc_co_u32_e64 v12, s[0:1], 0, v5, s[0:1]
	v_cndmask_b32_e64 v2, 0, -1, vcc
	v_cmp_eq_u32_e32 vcc, s15, v3
	v_cmp_ne_u32_e64 s[0:1], 0, v7
	v_cndmask_b32_e32 v2, v8, v2, vcc
	v_cndmask_b32_e64 v7, v12, v10, s[0:1]
	v_cmp_ne_u32_e32 vcc, 0, v2
	v_cndmask_b32_e64 v3, v11, v9, s[0:1]
	v_cndmask_b32_e32 v2, v5, v7, vcc
	v_cndmask_b32_e32 v3, v4, v3, vcc
	v_xor_b32_e32 v4, s12, v6
	v_xor_b32_e32 v5, v2, v4
	;; [unrolled: 1-line block ×3, first 2 shown]
	v_sub_co_u32_e32 v2, vcc, v2, v4
	v_subb_co_u32_e32 v3, vcc, v5, v4, vcc
.LBB4_3:
	s_andn2_saveexec_b64 s[0:1], s[10:11]
	s_cbranch_execz .LBB4_5
; %bb.4:
	v_cvt_f32_u32_e32 v2, s2
	s_sub_i32 s6, 0, s2
	v_rcp_iflag_f32_e32 v2, v2
	v_mul_f32_e32 v2, 0x4f7ffffe, v2
	v_cvt_u32_f32_e32 v2, v2
	v_mul_lo_u32 v3, s6, v2
	v_mul_hi_u32 v3, v2, v3
	v_add_u32_e32 v2, v2, v3
	v_mul_hi_u32 v2, v0, v2
	v_mul_lo_u32 v3, v2, s2
	v_add_u32_e32 v4, 1, v2
	v_sub_u32_e32 v3, v0, v3
	v_subrev_u32_e32 v5, s2, v3
	v_cmp_le_u32_e32 vcc, s2, v3
	v_cndmask_b32_e32 v3, v3, v5, vcc
	v_cndmask_b32_e32 v2, v2, v4, vcc
	v_add_u32_e32 v4, 1, v2
	v_cmp_le_u32_e32 vcc, s2, v3
	v_cndmask_b32_e32 v2, v2, v4, vcc
	v_mov_b32_e32 v3, 0
.LBB4_5:
	s_or_b64 exec, exec, s[0:1]
	s_load_dwordx4 s[16:19], s[4:5], 0x90
	v_mul_lo_u32 v5, v3, s2
	v_mad_u64_u32 v[3:4], s[0:1], v2, s2, 0
	v_mul_lo_u32 v6, v2, s3
	s_waitcnt lgkmcnt(0)
	s_add_i32 s26, s19, s8
	s_load_dwordx8 s[8:15], s[4:5], 0x18
	v_sub_co_u32_e32 v3, vcc, v0, v3
	s_sub_i32 s0, 0, s17
	s_add_i32 s27, s18, s7
	s_waitcnt lgkmcnt(0)
	s_add_i32 s9, s17, s10
	s_max_i32 s18, s0, 0
	s_max_i32 s19, s17, 0
	v_max_i32_e32 v0, s17, v3
	s_add_i32 s9, s9, -1
	v_min_i32_e32 v0, s9, v0
	s_sub_i32 s9, s18, s19
	v_add3_u32 v4, v4, v6, v5
	s_sub_i32 s0, 0, s16
	s_max_i32 s29, s16, 0
	v_add_u32_e32 v5, s9, v0
	v_max_i32_e32 v0, s16, v2
	s_add_i32 s8, s16, s8
	s_load_dwordx8 s[16:23], s[4:5], 0x70
	s_max_i32 s28, s0, 0
	s_add_i32 s8, s8, -1
	s_load_dwordx2 s[6:7], s[4:5], 0x0
	s_load_dwordx2 s[24:25], s[4:5], 0x48
	s_load_dwordx4 s[0:3], s[4:5], 0x38
	v_min_i32_e32 v0, s8, v0
	s_sub_i32 s4, s28, s29
	s_ashr_i32 s10, s26, 31
	v_add_u32_e32 v6, s4, v0
	s_waitcnt lgkmcnt(0)
	s_mul_i32 s4, s16, s10
	s_mul_hi_u32 s5, s16, s26
	s_add_i32 s4, s5, s4
	s_mul_i32 s5, s17, s26
	s_add_i32 s5, s4, s5
	s_mul_i32 s4, s16, s26
	s_lshl_b64 s[4:5], s[4:5], 1
	s_add_u32 s11, s24, s4
	s_addc_u32 s16, s25, s5
	s_ashr_i32 s17, s27, 31
	s_mul_i32 s4, s18, s17
	s_mul_hi_u32 s5, s18, s27
	s_add_i32 s4, s5, s4
	s_mul_i32 s5, s19, s27
	v_ashrrev_i32_e32 v0, 31, v2
	v_subb_co_u32_e32 v4, vcc, v1, v4, vcc
	s_add_i32 s5, s4, s5
	s_mul_i32 s4, s18, s27
	v_mul_lo_u32 v7, s21, v2
	v_mul_lo_u32 v8, s20, v0
	v_mad_u64_u32 v[0:1], s[8:9], s20, v2, 0
	s_lshl_b64 s[4:5], s[4:5], 1
	s_add_u32 s8, s11, s4
	s_addc_u32 s4, s16, s5
	v_add3_u32 v1, v1, v8, v7
	v_mov_b32_e32 v7, s4
	v_mul_lo_u32 v8, s23, v3
	v_mul_lo_u32 v4, s22, v4
	v_mad_u64_u32 v[2:3], s[4:5], s22, v3, 0
	v_lshlrev_b64 v[0:1], 1, v[0:1]
	s_mul_i32 s4, s12, s10
	v_add_co_u32_e32 v9, vcc, s8, v0
	v_add3_u32 v3, v3, v4, v8
	s_mul_hi_u32 s5, s12, s26
	v_addc_co_u32_e32 v7, vcc, v7, v1, vcc
	v_lshlrev_b64 v[0:1], 1, v[2:3]
	s_add_i32 s4, s5, s4
	s_mul_i32 s5, s13, s26
	s_add_i32 s5, s4, s5
	s_mul_i32 s4, s12, s26
	v_add_co_u32_e32 v0, vcc, v9, v0
	s_lshl_b64 s[4:5], s[4:5], 1
	v_addc_co_u32_e32 v1, vcc, v7, v1, vcc
	s_add_u32 s6, s6, s4
	global_load_ushort v4, v[0:1], off
	s_addc_u32 s7, s7, s5
	s_mul_i32 s4, s14, s17
	s_mul_hi_u32 s5, s14, s27
	v_ashrrev_i32_e32 v0, 31, v6
	s_add_i32 s4, s5, s4
	s_mul_i32 s5, s15, s27
	v_mul_lo_u32 v2, s0, v0
	v_mul_lo_u32 v3, s1, v6
	v_mad_u64_u32 v[0:1], s[0:1], s0, v6, 0
	s_add_i32 s5, s4, s5
	s_mul_i32 s4, s14, s27
	s_lshl_b64 s[0:1], s[4:5], 1
	s_add_u32 s4, s6, s0
	s_addc_u32 s0, s7, s1
	v_add3_u32 v1, v1, v2, v3
	v_ashrrev_i32_e32 v2, 31, v5
	v_mov_b32_e32 v6, s0
	v_mul_lo_u32 v7, s2, v2
	v_mul_lo_u32 v8, s3, v5
	v_mad_u64_u32 v[2:3], s[0:1], s2, v5, 0
	v_lshlrev_b64 v[0:1], 1, v[0:1]
	s_mov_b32 s6, 0xffff0000
	v_add_co_u32_e32 v5, vcc, s4, v0
	v_add3_u32 v3, v3, v7, v8
	v_addc_co_u32_e32 v6, vcc, v6, v1, vcc
	v_lshlrev_b64 v[0:1], 1, v[2:3]
	s_mov_b64 s[4:5], 0
	v_add_co_u32_e32 v0, vcc, v5, v0
	v_addc_co_u32_e32 v1, vcc, v6, v1, vcc
	v_and_b32_e32 v5, 2, v0
	v_sub_co_u32_e32 v2, vcc, 0, v5
	v_subb_co_u32_e64 v3, s[0:1], 0, 0, vcc
	v_add_co_u32_e32 v0, vcc, v0, v2
	v_addc_co_u32_e32 v1, vcc, v1, v3, vcc
	global_load_dword v3, v[0:1], off
	v_mov_b32_e32 v6, 0
	v_cmp_eq_u64_e32 vcc, 0, v[5:6]
	v_cmp_ne_u32_e64 s[0:1], 0, v5
	s_branch .LBB4_7
.LBB4_6:                                ;   in Loop: Header=BB4_7 Depth=1
	s_or_b64 exec, exec, s[2:3]
	global_atomic_cmpswap v2, v[0:1], v[2:3], off glc
	s_waitcnt vmcnt(0)
	v_cmp_eq_u32_e64 s[2:3], v3, v2
	s_or_b64 s[4:5], s[2:3], s[4:5]
	v_mov_b32_e32 v3, v2
	s_andn2_b64 exec, exec, s[4:5]
	s_cbranch_execz .LBB4_11
.LBB4_7:                                ; =>This Inner Loop Header: Depth=1
	s_waitcnt vmcnt(0)
	v_cndmask_b32_sdwa v2, v3, v3, vcc dst_sel:DWORD dst_unused:UNUSED_PAD src0_sel:WORD_1 src1_sel:DWORD
	v_add_f16_e32 v5, v4, v2
	s_and_saveexec_b64 s[2:3], s[0:1]
	s_xor_b64 s[2:3], exec, s[2:3]
; %bb.8:                                ;   in Loop: Header=BB4_7 Depth=1
	v_and_b32_e32 v2, 0xffff, v3
	v_lshl_or_b32 v2, v5, 16, v2
                                        ; implicit-def: $vgpr5
; %bb.9:                                ;   in Loop: Header=BB4_7 Depth=1
	s_andn2_saveexec_b64 s[2:3], s[2:3]
	s_cbranch_execz .LBB4_6
; %bb.10:                               ;   in Loop: Header=BB4_7 Depth=1
	v_and_or_b32 v2, v3, s6, v5
	s_branch .LBB4_6
.LBB4_11:
	s_endpgm
	.section	.rodata,"a",@progbits
	.p2align	6, 0x0
	.amdhsa_kernel _ZN2at6native12_GLOBAL__N_131replication_pad_backward_kernelIN3c104HalfEEEvN5torch10headeronly6detail27GenericPackedTensorAccessorINS7_14TensorAccessorINS3_8ArrayRefIlEET_Lm3ENS6_16DefaultPtrTraitsElEENS_6detail16IndexBoundsCheckILm4ElEESC_Lm4ESD_lEENS8_INS9_ISB_KSC_Lm3ESD_lEESH_SJ_Lm4ESD_lEEiiii
		.amdhsa_group_segment_fixed_size 0
		.amdhsa_private_segment_fixed_size 0
		.amdhsa_kernarg_size 416
		.amdhsa_user_sgpr_count 6
		.amdhsa_user_sgpr_private_segment_buffer 1
		.amdhsa_user_sgpr_dispatch_ptr 0
		.amdhsa_user_sgpr_queue_ptr 0
		.amdhsa_user_sgpr_kernarg_segment_ptr 1
		.amdhsa_user_sgpr_dispatch_id 0
		.amdhsa_user_sgpr_flat_scratch_init 0
		.amdhsa_user_sgpr_private_segment_size 0
		.amdhsa_uses_dynamic_stack 0
		.amdhsa_system_sgpr_private_segment_wavefront_offset 0
		.amdhsa_system_sgpr_workgroup_id_x 1
		.amdhsa_system_sgpr_workgroup_id_y 1
		.amdhsa_system_sgpr_workgroup_id_z 1
		.amdhsa_system_sgpr_workgroup_info 0
		.amdhsa_system_vgpr_workitem_id 0
		.amdhsa_next_free_vgpr 13
		.amdhsa_next_free_sgpr 30
		.amdhsa_reserve_vcc 1
		.amdhsa_reserve_flat_scratch 0
		.amdhsa_float_round_mode_32 0
		.amdhsa_float_round_mode_16_64 0
		.amdhsa_float_denorm_mode_32 3
		.amdhsa_float_denorm_mode_16_64 3
		.amdhsa_dx10_clamp 1
		.amdhsa_ieee_mode 1
		.amdhsa_fp16_overflow 0
		.amdhsa_exception_fp_ieee_invalid_op 0
		.amdhsa_exception_fp_denorm_src 0
		.amdhsa_exception_fp_ieee_div_zero 0
		.amdhsa_exception_fp_ieee_overflow 0
		.amdhsa_exception_fp_ieee_underflow 0
		.amdhsa_exception_fp_ieee_inexact 0
		.amdhsa_exception_int_div_zero 0
	.end_amdhsa_kernel
	.section	.text._ZN2at6native12_GLOBAL__N_131replication_pad_backward_kernelIN3c104HalfEEEvN5torch10headeronly6detail27GenericPackedTensorAccessorINS7_14TensorAccessorINS3_8ArrayRefIlEET_Lm3ENS6_16DefaultPtrTraitsElEENS_6detail16IndexBoundsCheckILm4ElEESC_Lm4ESD_lEENS8_INS9_ISB_KSC_Lm3ESD_lEESH_SJ_Lm4ESD_lEEiiii,"axG",@progbits,_ZN2at6native12_GLOBAL__N_131replication_pad_backward_kernelIN3c104HalfEEEvN5torch10headeronly6detail27GenericPackedTensorAccessorINS7_14TensorAccessorINS3_8ArrayRefIlEET_Lm3ENS6_16DefaultPtrTraitsElEENS_6detail16IndexBoundsCheckILm4ElEESC_Lm4ESD_lEENS8_INS9_ISB_KSC_Lm3ESD_lEESH_SJ_Lm4ESD_lEEiiii,comdat
.Lfunc_end4:
	.size	_ZN2at6native12_GLOBAL__N_131replication_pad_backward_kernelIN3c104HalfEEEvN5torch10headeronly6detail27GenericPackedTensorAccessorINS7_14TensorAccessorINS3_8ArrayRefIlEET_Lm3ENS6_16DefaultPtrTraitsElEENS_6detail16IndexBoundsCheckILm4ElEESC_Lm4ESD_lEENS8_INS9_ISB_KSC_Lm3ESD_lEESH_SJ_Lm4ESD_lEEiiii, .Lfunc_end4-_ZN2at6native12_GLOBAL__N_131replication_pad_backward_kernelIN3c104HalfEEEvN5torch10headeronly6detail27GenericPackedTensorAccessorINS7_14TensorAccessorINS3_8ArrayRefIlEET_Lm3ENS6_16DefaultPtrTraitsElEENS_6detail16IndexBoundsCheckILm4ElEESC_Lm4ESD_lEENS8_INS9_ISB_KSC_Lm3ESD_lEESH_SJ_Lm4ESD_lEEiiii
                                        ; -- End function
	.set _ZN2at6native12_GLOBAL__N_131replication_pad_backward_kernelIN3c104HalfEEEvN5torch10headeronly6detail27GenericPackedTensorAccessorINS7_14TensorAccessorINS3_8ArrayRefIlEET_Lm3ENS6_16DefaultPtrTraitsElEENS_6detail16IndexBoundsCheckILm4ElEESC_Lm4ESD_lEENS8_INS9_ISB_KSC_Lm3ESD_lEESH_SJ_Lm4ESD_lEEiiii.num_vgpr, 13
	.set _ZN2at6native12_GLOBAL__N_131replication_pad_backward_kernelIN3c104HalfEEEvN5torch10headeronly6detail27GenericPackedTensorAccessorINS7_14TensorAccessorINS3_8ArrayRefIlEET_Lm3ENS6_16DefaultPtrTraitsElEENS_6detail16IndexBoundsCheckILm4ElEESC_Lm4ESD_lEENS8_INS9_ISB_KSC_Lm3ESD_lEESH_SJ_Lm4ESD_lEEiiii.num_agpr, 0
	.set _ZN2at6native12_GLOBAL__N_131replication_pad_backward_kernelIN3c104HalfEEEvN5torch10headeronly6detail27GenericPackedTensorAccessorINS7_14TensorAccessorINS3_8ArrayRefIlEET_Lm3ENS6_16DefaultPtrTraitsElEENS_6detail16IndexBoundsCheckILm4ElEESC_Lm4ESD_lEENS8_INS9_ISB_KSC_Lm3ESD_lEESH_SJ_Lm4ESD_lEEiiii.numbered_sgpr, 30
	.set _ZN2at6native12_GLOBAL__N_131replication_pad_backward_kernelIN3c104HalfEEEvN5torch10headeronly6detail27GenericPackedTensorAccessorINS7_14TensorAccessorINS3_8ArrayRefIlEET_Lm3ENS6_16DefaultPtrTraitsElEENS_6detail16IndexBoundsCheckILm4ElEESC_Lm4ESD_lEENS8_INS9_ISB_KSC_Lm3ESD_lEESH_SJ_Lm4ESD_lEEiiii.num_named_barrier, 0
	.set _ZN2at6native12_GLOBAL__N_131replication_pad_backward_kernelIN3c104HalfEEEvN5torch10headeronly6detail27GenericPackedTensorAccessorINS7_14TensorAccessorINS3_8ArrayRefIlEET_Lm3ENS6_16DefaultPtrTraitsElEENS_6detail16IndexBoundsCheckILm4ElEESC_Lm4ESD_lEENS8_INS9_ISB_KSC_Lm3ESD_lEESH_SJ_Lm4ESD_lEEiiii.private_seg_size, 0
	.set _ZN2at6native12_GLOBAL__N_131replication_pad_backward_kernelIN3c104HalfEEEvN5torch10headeronly6detail27GenericPackedTensorAccessorINS7_14TensorAccessorINS3_8ArrayRefIlEET_Lm3ENS6_16DefaultPtrTraitsElEENS_6detail16IndexBoundsCheckILm4ElEESC_Lm4ESD_lEENS8_INS9_ISB_KSC_Lm3ESD_lEESH_SJ_Lm4ESD_lEEiiii.uses_vcc, 1
	.set _ZN2at6native12_GLOBAL__N_131replication_pad_backward_kernelIN3c104HalfEEEvN5torch10headeronly6detail27GenericPackedTensorAccessorINS7_14TensorAccessorINS3_8ArrayRefIlEET_Lm3ENS6_16DefaultPtrTraitsElEENS_6detail16IndexBoundsCheckILm4ElEESC_Lm4ESD_lEENS8_INS9_ISB_KSC_Lm3ESD_lEESH_SJ_Lm4ESD_lEEiiii.uses_flat_scratch, 0
	.set _ZN2at6native12_GLOBAL__N_131replication_pad_backward_kernelIN3c104HalfEEEvN5torch10headeronly6detail27GenericPackedTensorAccessorINS7_14TensorAccessorINS3_8ArrayRefIlEET_Lm3ENS6_16DefaultPtrTraitsElEENS_6detail16IndexBoundsCheckILm4ElEESC_Lm4ESD_lEENS8_INS9_ISB_KSC_Lm3ESD_lEESH_SJ_Lm4ESD_lEEiiii.has_dyn_sized_stack, 0
	.set _ZN2at6native12_GLOBAL__N_131replication_pad_backward_kernelIN3c104HalfEEEvN5torch10headeronly6detail27GenericPackedTensorAccessorINS7_14TensorAccessorINS3_8ArrayRefIlEET_Lm3ENS6_16DefaultPtrTraitsElEENS_6detail16IndexBoundsCheckILm4ElEESC_Lm4ESD_lEENS8_INS9_ISB_KSC_Lm3ESD_lEESH_SJ_Lm4ESD_lEEiiii.has_recursion, 0
	.set _ZN2at6native12_GLOBAL__N_131replication_pad_backward_kernelIN3c104HalfEEEvN5torch10headeronly6detail27GenericPackedTensorAccessorINS7_14TensorAccessorINS3_8ArrayRefIlEET_Lm3ENS6_16DefaultPtrTraitsElEENS_6detail16IndexBoundsCheckILm4ElEESC_Lm4ESD_lEENS8_INS9_ISB_KSC_Lm3ESD_lEESH_SJ_Lm4ESD_lEEiiii.has_indirect_call, 0
	.section	.AMDGPU.csdata,"",@progbits
; Kernel info:
; codeLenInByte = 1544
; TotalNumSgprs: 34
; NumVgprs: 13
; ScratchSize: 0
; MemoryBound: 0
; FloatMode: 240
; IeeeMode: 1
; LDSByteSize: 0 bytes/workgroup (compile time only)
; SGPRBlocks: 4
; VGPRBlocks: 3
; NumSGPRsForWavesPerEU: 34
; NumVGPRsForWavesPerEU: 13
; Occupancy: 10
; WaveLimiterHint : 1
; COMPUTE_PGM_RSRC2:SCRATCH_EN: 0
; COMPUTE_PGM_RSRC2:USER_SGPR: 6
; COMPUTE_PGM_RSRC2:TRAP_HANDLER: 0
; COMPUTE_PGM_RSRC2:TGID_X_EN: 1
; COMPUTE_PGM_RSRC2:TGID_Y_EN: 1
; COMPUTE_PGM_RSRC2:TGID_Z_EN: 1
; COMPUTE_PGM_RSRC2:TIDIG_COMP_CNT: 0
	.section	.text._ZN2at6native12_GLOBAL__N_131replication_pad_backward_kernelIN3c108BFloat16EEEvN5torch10headeronly6detail27GenericPackedTensorAccessorINS7_14TensorAccessorINS3_8ArrayRefIlEET_Lm3ENS6_16DefaultPtrTraitsElEENS_6detail16IndexBoundsCheckILm4ElEESC_Lm4ESD_lEENS8_INS9_ISB_KSC_Lm3ESD_lEESH_SJ_Lm4ESD_lEEiiii,"axG",@progbits,_ZN2at6native12_GLOBAL__N_131replication_pad_backward_kernelIN3c108BFloat16EEEvN5torch10headeronly6detail27GenericPackedTensorAccessorINS7_14TensorAccessorINS3_8ArrayRefIlEET_Lm3ENS6_16DefaultPtrTraitsElEENS_6detail16IndexBoundsCheckILm4ElEESC_Lm4ESD_lEENS8_INS9_ISB_KSC_Lm3ESD_lEESH_SJ_Lm4ESD_lEEiiii,comdat
	.globl	_ZN2at6native12_GLOBAL__N_131replication_pad_backward_kernelIN3c108BFloat16EEEvN5torch10headeronly6detail27GenericPackedTensorAccessorINS7_14TensorAccessorINS3_8ArrayRefIlEET_Lm3ENS6_16DefaultPtrTraitsElEENS_6detail16IndexBoundsCheckILm4ElEESC_Lm4ESD_lEENS8_INS9_ISB_KSC_Lm3ESD_lEESH_SJ_Lm4ESD_lEEiiii ; -- Begin function _ZN2at6native12_GLOBAL__N_131replication_pad_backward_kernelIN3c108BFloat16EEEvN5torch10headeronly6detail27GenericPackedTensorAccessorINS7_14TensorAccessorINS3_8ArrayRefIlEET_Lm3ENS6_16DefaultPtrTraitsElEENS_6detail16IndexBoundsCheckILm4ElEESC_Lm4ESD_lEENS8_INS9_ISB_KSC_Lm3ESD_lEESH_SJ_Lm4ESD_lEEiiii
	.p2align	8
	.type	_ZN2at6native12_GLOBAL__N_131replication_pad_backward_kernelIN3c108BFloat16EEEvN5torch10headeronly6detail27GenericPackedTensorAccessorINS7_14TensorAccessorINS3_8ArrayRefIlEET_Lm3ENS6_16DefaultPtrTraitsElEENS_6detail16IndexBoundsCheckILm4ElEESC_Lm4ESD_lEENS8_INS9_ISB_KSC_Lm3ESD_lEESH_SJ_Lm4ESD_lEEiiii,@function
_ZN2at6native12_GLOBAL__N_131replication_pad_backward_kernelIN3c108BFloat16EEEvN5torch10headeronly6detail27GenericPackedTensorAccessorINS7_14TensorAccessorINS3_8ArrayRefIlEET_Lm3ENS6_16DefaultPtrTraitsElEENS_6detail16IndexBoundsCheckILm4ElEESC_Lm4ESD_lEENS8_INS9_ISB_KSC_Lm3ESD_lEESH_SJ_Lm4ESD_lEEiiii: ; @_ZN2at6native12_GLOBAL__N_131replication_pad_backward_kernelIN3c108BFloat16EEEvN5torch10headeronly6detail27GenericPackedTensorAccessorINS7_14TensorAccessorINS3_8ArrayRefIlEET_Lm3ENS6_16DefaultPtrTraitsElEENS_6detail16IndexBoundsCheckILm4ElEESC_Lm4ESD_lEENS8_INS9_ISB_KSC_Lm3ESD_lEESH_SJ_Lm4ESD_lEEiiii
; %bb.0:
	s_load_dword s9, s[4:5], 0xac
	s_load_dwordx4 s[0:3], s[4:5], 0x60
	s_waitcnt lgkmcnt(0)
	s_and_b32 s9, s9, 0xffff
	s_mul_i32 s6, s6, s9
	v_add_u32_e32 v0, s6, v0
	s_mul_i32 s1, s2, s1
	s_mul_hi_u32 s6, s2, s0
	s_add_i32 s1, s6, s1
	s_mul_i32 s6, s3, s0
	v_ashrrev_i32_e32 v1, 31, v0
	s_add_i32 s1, s1, s6
	s_mul_i32 s0, s2, s0
	v_cmp_gt_i64_e32 vcc, s[0:1], v[0:1]
	s_and_saveexec_b64 s[0:1], vcc
	s_cbranch_execz .LBB5_7
; %bb.1:
	v_or_b32_e32 v3, s3, v1
	v_mov_b32_e32 v2, 0
	v_cmp_ne_u64_e32 vcc, 0, v[2:3]
                                        ; implicit-def: $vgpr2_vgpr3
	s_and_saveexec_b64 s[0:1], vcc
	s_xor_b64 s[10:11], exec, s[0:1]
	s_cbranch_execz .LBB5_3
; %bb.2:
	s_ashr_i32 s12, s3, 31
	s_add_u32 s0, s2, s12
	s_mov_b32 s13, s12
	s_addc_u32 s1, s3, s12
	s_xor_b64 s[14:15], s[0:1], s[12:13]
	v_cvt_f32_u32_e32 v2, s14
	v_cvt_f32_u32_e32 v3, s15
	s_sub_u32 s6, 0, s14
	s_subb_u32 s9, 0, s15
	v_ashrrev_i32_e32 v6, 31, v1
	v_madmk_f32 v2, v3, 0x4f800000, v2
	v_rcp_f32_e32 v2, v2
	v_mul_f32_e32 v2, 0x5f7ffffc, v2
	v_mul_f32_e32 v3, 0x2f800000, v2
	v_trunc_f32_e32 v3, v3
	v_madmk_f32 v2, v3, 0xcf800000, v2
	v_cvt_u32_f32_e32 v3, v3
	v_cvt_u32_f32_e32 v2, v2
	v_readfirstlane_b32 s13, v3
	v_readfirstlane_b32 s0, v2
	s_mul_i32 s1, s6, s13
	s_mul_hi_u32 s17, s6, s0
	s_mul_i32 s16, s9, s0
	s_add_i32 s1, s17, s1
	s_add_i32 s1, s1, s16
	s_mul_i32 s18, s6, s0
	s_mul_i32 s17, s0, s1
	s_mul_hi_u32 s19, s0, s18
	s_mul_hi_u32 s16, s0, s1
	s_add_u32 s17, s19, s17
	s_addc_u32 s16, 0, s16
	s_mul_hi_u32 s20, s13, s18
	s_mul_i32 s18, s13, s18
	s_add_u32 s17, s17, s18
	s_mul_hi_u32 s19, s13, s1
	s_addc_u32 s16, s16, s20
	s_addc_u32 s17, s19, 0
	s_mul_i32 s1, s13, s1
	s_add_u32 s1, s16, s1
	s_addc_u32 s16, 0, s17
	s_add_u32 s17, s0, s1
	s_cselect_b64 s[0:1], -1, 0
	s_cmp_lg_u64 s[0:1], 0
	s_addc_u32 s13, s13, s16
	s_mul_i32 s0, s6, s13
	s_mul_hi_u32 s1, s6, s17
	s_add_i32 s0, s1, s0
	s_mul_i32 s9, s9, s17
	s_add_i32 s0, s0, s9
	s_mul_i32 s6, s6, s17
	s_mul_hi_u32 s9, s13, s6
	s_mul_i32 s16, s13, s6
	s_mul_i32 s19, s17, s0
	s_mul_hi_u32 s6, s17, s6
	s_mul_hi_u32 s18, s17, s0
	s_add_u32 s6, s6, s19
	s_addc_u32 s18, 0, s18
	s_add_u32 s6, s6, s16
	s_mul_hi_u32 s1, s13, s0
	s_addc_u32 s6, s18, s9
	s_addc_u32 s1, s1, 0
	s_mul_i32 s0, s13, s0
	s_add_u32 s0, s6, s0
	s_addc_u32 s6, 0, s1
	s_add_u32 s9, s17, s0
	s_cselect_b64 s[0:1], -1, 0
	s_cmp_lg_u64 s[0:1], 0
	v_add_co_u32_e32 v2, vcc, v0, v6
	s_addc_u32 s6, s13, s6
	v_xor_b32_e32 v7, v2, v6
	v_mad_u64_u32 v[2:3], s[0:1], v7, s6, 0
	v_mul_hi_u32 v5, v7, s9
	v_addc_co_u32_e32 v4, vcc, v1, v6, vcc
	v_xor_b32_e32 v8, v4, v6
	v_add_co_u32_e32 v9, vcc, v5, v2
	v_addc_co_u32_e32 v10, vcc, 0, v3, vcc
	v_mad_u64_u32 v[2:3], s[0:1], v8, s9, 0
	v_mad_u64_u32 v[4:5], s[0:1], v8, s6, 0
	v_add_co_u32_e32 v2, vcc, v9, v2
	v_addc_co_u32_e32 v2, vcc, v10, v3, vcc
	v_addc_co_u32_e32 v3, vcc, 0, v5, vcc
	v_add_co_u32_e32 v4, vcc, v2, v4
	v_addc_co_u32_e32 v5, vcc, 0, v3, vcc
	v_mul_lo_u32 v9, s15, v4
	v_mul_lo_u32 v10, s14, v5
	v_mad_u64_u32 v[2:3], s[0:1], s14, v4, 0
	v_add3_u32 v3, v3, v10, v9
	v_sub_u32_e32 v9, v8, v3
	v_mov_b32_e32 v10, s15
	v_sub_co_u32_e32 v2, vcc, v7, v2
	v_subb_co_u32_e64 v7, s[0:1], v9, v10, vcc
	v_subrev_co_u32_e64 v9, s[0:1], s14, v2
	v_subbrev_co_u32_e64 v7, s[0:1], 0, v7, s[0:1]
	v_cmp_le_u32_e64 s[0:1], s15, v7
	v_cndmask_b32_e64 v10, 0, -1, s[0:1]
	v_cmp_le_u32_e64 s[0:1], s14, v9
	v_cndmask_b32_e64 v9, 0, -1, s[0:1]
	v_cmp_eq_u32_e64 s[0:1], s15, v7
	v_cndmask_b32_e64 v7, v10, v9, s[0:1]
	v_add_co_u32_e64 v9, s[0:1], 2, v4
	v_subb_co_u32_e32 v3, vcc, v8, v3, vcc
	v_addc_co_u32_e64 v10, s[0:1], 0, v5, s[0:1]
	v_cmp_le_u32_e32 vcc, s15, v3
	v_add_co_u32_e64 v11, s[0:1], 1, v4
	v_cndmask_b32_e64 v8, 0, -1, vcc
	v_cmp_le_u32_e32 vcc, s14, v2
	v_addc_co_u32_e64 v12, s[0:1], 0, v5, s[0:1]
	v_cndmask_b32_e64 v2, 0, -1, vcc
	v_cmp_eq_u32_e32 vcc, s15, v3
	v_cmp_ne_u32_e64 s[0:1], 0, v7
	v_cndmask_b32_e32 v2, v8, v2, vcc
	v_cndmask_b32_e64 v7, v12, v10, s[0:1]
	v_cmp_ne_u32_e32 vcc, 0, v2
	v_cndmask_b32_e64 v3, v11, v9, s[0:1]
	v_cndmask_b32_e32 v2, v5, v7, vcc
	v_cndmask_b32_e32 v3, v4, v3, vcc
	v_xor_b32_e32 v4, s12, v6
	v_xor_b32_e32 v5, v2, v4
	;; [unrolled: 1-line block ×3, first 2 shown]
	v_sub_co_u32_e32 v2, vcc, v2, v4
	v_subb_co_u32_e32 v3, vcc, v5, v4, vcc
.LBB5_3:
	s_andn2_saveexec_b64 s[0:1], s[10:11]
	s_cbranch_execz .LBB5_5
; %bb.4:
	v_cvt_f32_u32_e32 v2, s2
	s_sub_i32 s6, 0, s2
	v_rcp_iflag_f32_e32 v2, v2
	v_mul_f32_e32 v2, 0x4f7ffffe, v2
	v_cvt_u32_f32_e32 v2, v2
	v_mul_lo_u32 v3, s6, v2
	v_mul_hi_u32 v3, v2, v3
	v_add_u32_e32 v2, v2, v3
	v_mul_hi_u32 v2, v0, v2
	v_mul_lo_u32 v3, v2, s2
	v_add_u32_e32 v4, 1, v2
	v_sub_u32_e32 v3, v0, v3
	v_subrev_u32_e32 v5, s2, v3
	v_cmp_le_u32_e32 vcc, s2, v3
	v_cndmask_b32_e32 v3, v3, v5, vcc
	v_cndmask_b32_e32 v2, v2, v4, vcc
	v_add_u32_e32 v4, 1, v2
	v_cmp_le_u32_e32 vcc, s2, v3
	v_cndmask_b32_e32 v2, v2, v4, vcc
	v_mov_b32_e32 v3, 0
.LBB5_5:
	s_or_b64 exec, exec, s[0:1]
	s_load_dwordx4 s[16:19], s[4:5], 0x90
	v_mul_lo_u32 v5, v3, s2
	v_mad_u64_u32 v[3:4], s[0:1], v2, s2, 0
	v_mul_lo_u32 v6, v2, s3
	s_waitcnt lgkmcnt(0)
	s_add_i32 s26, s19, s8
	s_load_dwordx8 s[8:15], s[4:5], 0x18
	v_sub_co_u32_e32 v3, vcc, v0, v3
	s_sub_i32 s0, 0, s17
	s_add_i32 s27, s18, s7
	s_waitcnt lgkmcnt(0)
	s_add_i32 s9, s17, s10
	s_max_i32 s18, s0, 0
	s_max_i32 s19, s17, 0
	v_max_i32_e32 v0, s17, v3
	s_add_i32 s9, s9, -1
	v_min_i32_e32 v0, s9, v0
	s_sub_i32 s9, s18, s19
	v_add3_u32 v4, v4, v6, v5
	s_sub_i32 s0, 0, s16
	s_max_i32 s29, s16, 0
	v_add_u32_e32 v5, s9, v0
	v_max_i32_e32 v0, s16, v2
	s_add_i32 s8, s16, s8
	s_load_dwordx8 s[16:23], s[4:5], 0x70
	s_max_i32 s28, s0, 0
	s_add_i32 s8, s8, -1
	s_load_dwordx2 s[6:7], s[4:5], 0x0
	s_load_dwordx2 s[24:25], s[4:5], 0x48
	s_load_dwordx4 s[0:3], s[4:5], 0x38
	v_min_i32_e32 v0, s8, v0
	s_sub_i32 s4, s28, s29
	s_ashr_i32 s10, s26, 31
	v_add_u32_e32 v6, s4, v0
	s_waitcnt lgkmcnt(0)
	s_mul_i32 s4, s16, s10
	s_mul_hi_u32 s5, s16, s26
	s_add_i32 s4, s5, s4
	s_mul_i32 s5, s17, s26
	s_add_i32 s5, s4, s5
	s_mul_i32 s4, s16, s26
	s_lshl_b64 s[4:5], s[4:5], 1
	s_add_u32 s11, s24, s4
	s_addc_u32 s16, s25, s5
	s_ashr_i32 s17, s27, 31
	s_mul_i32 s4, s18, s17
	s_mul_hi_u32 s5, s18, s27
	s_add_i32 s4, s5, s4
	s_mul_i32 s5, s19, s27
	v_ashrrev_i32_e32 v0, 31, v2
	v_subb_co_u32_e32 v4, vcc, v1, v4, vcc
	s_add_i32 s5, s4, s5
	s_mul_i32 s4, s18, s27
	v_mul_lo_u32 v7, s21, v2
	v_mul_lo_u32 v8, s20, v0
	v_mad_u64_u32 v[0:1], s[8:9], s20, v2, 0
	s_lshl_b64 s[4:5], s[4:5], 1
	s_add_u32 s8, s11, s4
	s_addc_u32 s4, s16, s5
	v_add3_u32 v1, v1, v8, v7
	v_mov_b32_e32 v7, s4
	v_mul_lo_u32 v8, s23, v3
	v_mul_lo_u32 v4, s22, v4
	v_mad_u64_u32 v[2:3], s[4:5], s22, v3, 0
	v_lshlrev_b64 v[0:1], 1, v[0:1]
	s_mul_i32 s4, s12, s10
	s_mul_hi_u32 s5, s12, s26
	s_add_i32 s4, s5, s4
	s_mul_i32 s5, s13, s26
	v_add_co_u32_e32 v9, vcc, s8, v0
	v_add3_u32 v3, v3, v4, v8
	s_add_i32 s5, s4, s5
	s_mul_i32 s4, s12, s26
	v_addc_co_u32_e32 v7, vcc, v7, v1, vcc
	v_lshlrev_b64 v[0:1], 1, v[2:3]
	s_lshl_b64 s[4:5], s[4:5], 1
	s_add_u32 s6, s6, s4
	v_add_co_u32_e32 v0, vcc, v9, v0
	s_addc_u32 s7, s7, s5
	s_mul_i32 s4, s14, s17
	s_mul_hi_u32 s5, s14, s27
	v_ashrrev_i32_e32 v2, 31, v6
	v_addc_co_u32_e32 v1, vcc, v7, v1, vcc
	s_add_i32 s4, s5, s4
	s_mul_i32 s5, s15, s27
	v_mul_lo_u32 v4, s0, v2
	v_mul_lo_u32 v7, s1, v6
	v_mad_u64_u32 v[2:3], s[0:1], s0, v6, 0
	s_add_i32 s5, s4, s5
	s_mul_i32 s4, s14, s27
	s_lshl_b64 s[0:1], s[4:5], 1
	s_add_u32 s4, s6, s0
	s_addc_u32 s0, s7, s1
	v_add3_u32 v3, v3, v4, v7
	v_ashrrev_i32_e32 v4, 31, v5
	v_mov_b32_e32 v6, s0
	v_mul_lo_u32 v7, s2, v4
	v_mul_lo_u32 v8, s3, v5
	v_mad_u64_u32 v[4:5], s[0:1], s2, v5, 0
	v_lshlrev_b64 v[2:3], 1, v[2:3]
	s_mov_b64 s[2:3], 0
	v_add_co_u32_e32 v9, vcc, s4, v2
	v_add3_u32 v5, v5, v7, v8
	v_addc_co_u32_e32 v6, vcc, v6, v3, vcc
	v_lshlrev_b64 v[2:3], 1, v[4:5]
	global_load_ushort v7, v[0:1], off
	v_add_co_u32_e32 v2, vcc, v9, v2
	v_addc_co_u32_e32 v3, vcc, v6, v3, vcc
	v_and_b32_e32 v4, 2, v2
	v_sub_co_u32_e32 v5, vcc, 0, v4
	v_subb_co_u32_e64 v6, s[0:1], 0, 0, vcc
	v_add_co_u32_e32 v0, vcc, v2, v5
	v_addc_co_u32_e32 v1, vcc, v3, v6, vcc
	global_load_dword v3, v[0:1], off
	v_mov_b32_e32 v5, 0
	v_cmp_eq_u64_e64 s[0:1], 0, v[4:5]
	s_movk_i32 s4, 0x7fff
	s_mov_b32 s5, 0xffff0000
	v_mov_b32_e32 v5, 0x7fc0
	s_waitcnt vmcnt(1)
	v_lshlrev_b32_e32 v4, 16, v7
.LBB5_6:                                ; =>This Inner Loop Header: Depth=1
	s_mov_b64 vcc, s[0:1]
	s_waitcnt vmcnt(0)
	v_and_b32_e32 v2, 0xffff, v3
	v_cndmask_b32_sdwa v6, v3, v2, vcc dst_sel:WORD_1 dst_unused:UNUSED_PAD src0_sel:WORD_1 src1_sel:DWORD
	v_add_f32_e32 v6, v4, v6
	v_bfe_u32 v7, v6, 16, 1
	v_cmp_o_f32_e32 vcc, v6, v6
	v_add3_u32 v6, v6, v7, s4
	v_cndmask_b32_sdwa v6, v5, v6, vcc dst_sel:DWORD dst_unused:UNUSED_PAD src0_sel:DWORD src1_sel:WORD_1
	v_lshl_or_b32 v2, v6, 16, v2
	v_and_or_b32 v6, v3, s5, v6
	v_cndmask_b32_e64 v2, v2, v6, s[0:1]
	global_atomic_cmpswap v2, v[0:1], v[2:3], off glc
	s_waitcnt vmcnt(0)
	v_cmp_eq_u32_e32 vcc, v3, v2
	s_or_b64 s[2:3], vcc, s[2:3]
	v_mov_b32_e32 v3, v2
	s_andn2_b64 exec, exec, s[2:3]
	s_cbranch_execnz .LBB5_6
.LBB5_7:
	s_endpgm
	.section	.rodata,"a",@progbits
	.p2align	6, 0x0
	.amdhsa_kernel _ZN2at6native12_GLOBAL__N_131replication_pad_backward_kernelIN3c108BFloat16EEEvN5torch10headeronly6detail27GenericPackedTensorAccessorINS7_14TensorAccessorINS3_8ArrayRefIlEET_Lm3ENS6_16DefaultPtrTraitsElEENS_6detail16IndexBoundsCheckILm4ElEESC_Lm4ESD_lEENS8_INS9_ISB_KSC_Lm3ESD_lEESH_SJ_Lm4ESD_lEEiiii
		.amdhsa_group_segment_fixed_size 0
		.amdhsa_private_segment_fixed_size 0
		.amdhsa_kernarg_size 416
		.amdhsa_user_sgpr_count 6
		.amdhsa_user_sgpr_private_segment_buffer 1
		.amdhsa_user_sgpr_dispatch_ptr 0
		.amdhsa_user_sgpr_queue_ptr 0
		.amdhsa_user_sgpr_kernarg_segment_ptr 1
		.amdhsa_user_sgpr_dispatch_id 0
		.amdhsa_user_sgpr_flat_scratch_init 0
		.amdhsa_user_sgpr_private_segment_size 0
		.amdhsa_uses_dynamic_stack 0
		.amdhsa_system_sgpr_private_segment_wavefront_offset 0
		.amdhsa_system_sgpr_workgroup_id_x 1
		.amdhsa_system_sgpr_workgroup_id_y 1
		.amdhsa_system_sgpr_workgroup_id_z 1
		.amdhsa_system_sgpr_workgroup_info 0
		.amdhsa_system_vgpr_workitem_id 0
		.amdhsa_next_free_vgpr 13
		.amdhsa_next_free_sgpr 30
		.amdhsa_reserve_vcc 1
		.amdhsa_reserve_flat_scratch 0
		.amdhsa_float_round_mode_32 0
		.amdhsa_float_round_mode_16_64 0
		.amdhsa_float_denorm_mode_32 3
		.amdhsa_float_denorm_mode_16_64 3
		.amdhsa_dx10_clamp 1
		.amdhsa_ieee_mode 1
		.amdhsa_fp16_overflow 0
		.amdhsa_exception_fp_ieee_invalid_op 0
		.amdhsa_exception_fp_denorm_src 0
		.amdhsa_exception_fp_ieee_div_zero 0
		.amdhsa_exception_fp_ieee_overflow 0
		.amdhsa_exception_fp_ieee_underflow 0
		.amdhsa_exception_fp_ieee_inexact 0
		.amdhsa_exception_int_div_zero 0
	.end_amdhsa_kernel
	.section	.text._ZN2at6native12_GLOBAL__N_131replication_pad_backward_kernelIN3c108BFloat16EEEvN5torch10headeronly6detail27GenericPackedTensorAccessorINS7_14TensorAccessorINS3_8ArrayRefIlEET_Lm3ENS6_16DefaultPtrTraitsElEENS_6detail16IndexBoundsCheckILm4ElEESC_Lm4ESD_lEENS8_INS9_ISB_KSC_Lm3ESD_lEESH_SJ_Lm4ESD_lEEiiii,"axG",@progbits,_ZN2at6native12_GLOBAL__N_131replication_pad_backward_kernelIN3c108BFloat16EEEvN5torch10headeronly6detail27GenericPackedTensorAccessorINS7_14TensorAccessorINS3_8ArrayRefIlEET_Lm3ENS6_16DefaultPtrTraitsElEENS_6detail16IndexBoundsCheckILm4ElEESC_Lm4ESD_lEENS8_INS9_ISB_KSC_Lm3ESD_lEESH_SJ_Lm4ESD_lEEiiii,comdat
.Lfunc_end5:
	.size	_ZN2at6native12_GLOBAL__N_131replication_pad_backward_kernelIN3c108BFloat16EEEvN5torch10headeronly6detail27GenericPackedTensorAccessorINS7_14TensorAccessorINS3_8ArrayRefIlEET_Lm3ENS6_16DefaultPtrTraitsElEENS_6detail16IndexBoundsCheckILm4ElEESC_Lm4ESD_lEENS8_INS9_ISB_KSC_Lm3ESD_lEESH_SJ_Lm4ESD_lEEiiii, .Lfunc_end5-_ZN2at6native12_GLOBAL__N_131replication_pad_backward_kernelIN3c108BFloat16EEEvN5torch10headeronly6detail27GenericPackedTensorAccessorINS7_14TensorAccessorINS3_8ArrayRefIlEET_Lm3ENS6_16DefaultPtrTraitsElEENS_6detail16IndexBoundsCheckILm4ElEESC_Lm4ESD_lEENS8_INS9_ISB_KSC_Lm3ESD_lEESH_SJ_Lm4ESD_lEEiiii
                                        ; -- End function
	.set _ZN2at6native12_GLOBAL__N_131replication_pad_backward_kernelIN3c108BFloat16EEEvN5torch10headeronly6detail27GenericPackedTensorAccessorINS7_14TensorAccessorINS3_8ArrayRefIlEET_Lm3ENS6_16DefaultPtrTraitsElEENS_6detail16IndexBoundsCheckILm4ElEESC_Lm4ESD_lEENS8_INS9_ISB_KSC_Lm3ESD_lEESH_SJ_Lm4ESD_lEEiiii.num_vgpr, 13
	.set _ZN2at6native12_GLOBAL__N_131replication_pad_backward_kernelIN3c108BFloat16EEEvN5torch10headeronly6detail27GenericPackedTensorAccessorINS7_14TensorAccessorINS3_8ArrayRefIlEET_Lm3ENS6_16DefaultPtrTraitsElEENS_6detail16IndexBoundsCheckILm4ElEESC_Lm4ESD_lEENS8_INS9_ISB_KSC_Lm3ESD_lEESH_SJ_Lm4ESD_lEEiiii.num_agpr, 0
	.set _ZN2at6native12_GLOBAL__N_131replication_pad_backward_kernelIN3c108BFloat16EEEvN5torch10headeronly6detail27GenericPackedTensorAccessorINS7_14TensorAccessorINS3_8ArrayRefIlEET_Lm3ENS6_16DefaultPtrTraitsElEENS_6detail16IndexBoundsCheckILm4ElEESC_Lm4ESD_lEENS8_INS9_ISB_KSC_Lm3ESD_lEESH_SJ_Lm4ESD_lEEiiii.numbered_sgpr, 30
	.set _ZN2at6native12_GLOBAL__N_131replication_pad_backward_kernelIN3c108BFloat16EEEvN5torch10headeronly6detail27GenericPackedTensorAccessorINS7_14TensorAccessorINS3_8ArrayRefIlEET_Lm3ENS6_16DefaultPtrTraitsElEENS_6detail16IndexBoundsCheckILm4ElEESC_Lm4ESD_lEENS8_INS9_ISB_KSC_Lm3ESD_lEESH_SJ_Lm4ESD_lEEiiii.num_named_barrier, 0
	.set _ZN2at6native12_GLOBAL__N_131replication_pad_backward_kernelIN3c108BFloat16EEEvN5torch10headeronly6detail27GenericPackedTensorAccessorINS7_14TensorAccessorINS3_8ArrayRefIlEET_Lm3ENS6_16DefaultPtrTraitsElEENS_6detail16IndexBoundsCheckILm4ElEESC_Lm4ESD_lEENS8_INS9_ISB_KSC_Lm3ESD_lEESH_SJ_Lm4ESD_lEEiiii.private_seg_size, 0
	.set _ZN2at6native12_GLOBAL__N_131replication_pad_backward_kernelIN3c108BFloat16EEEvN5torch10headeronly6detail27GenericPackedTensorAccessorINS7_14TensorAccessorINS3_8ArrayRefIlEET_Lm3ENS6_16DefaultPtrTraitsElEENS_6detail16IndexBoundsCheckILm4ElEESC_Lm4ESD_lEENS8_INS9_ISB_KSC_Lm3ESD_lEESH_SJ_Lm4ESD_lEEiiii.uses_vcc, 1
	.set _ZN2at6native12_GLOBAL__N_131replication_pad_backward_kernelIN3c108BFloat16EEEvN5torch10headeronly6detail27GenericPackedTensorAccessorINS7_14TensorAccessorINS3_8ArrayRefIlEET_Lm3ENS6_16DefaultPtrTraitsElEENS_6detail16IndexBoundsCheckILm4ElEESC_Lm4ESD_lEENS8_INS9_ISB_KSC_Lm3ESD_lEESH_SJ_Lm4ESD_lEEiiii.uses_flat_scratch, 0
	.set _ZN2at6native12_GLOBAL__N_131replication_pad_backward_kernelIN3c108BFloat16EEEvN5torch10headeronly6detail27GenericPackedTensorAccessorINS7_14TensorAccessorINS3_8ArrayRefIlEET_Lm3ENS6_16DefaultPtrTraitsElEENS_6detail16IndexBoundsCheckILm4ElEESC_Lm4ESD_lEENS8_INS9_ISB_KSC_Lm3ESD_lEESH_SJ_Lm4ESD_lEEiiii.has_dyn_sized_stack, 0
	.set _ZN2at6native12_GLOBAL__N_131replication_pad_backward_kernelIN3c108BFloat16EEEvN5torch10headeronly6detail27GenericPackedTensorAccessorINS7_14TensorAccessorINS3_8ArrayRefIlEET_Lm3ENS6_16DefaultPtrTraitsElEENS_6detail16IndexBoundsCheckILm4ElEESC_Lm4ESD_lEENS8_INS9_ISB_KSC_Lm3ESD_lEESH_SJ_Lm4ESD_lEEiiii.has_recursion, 0
	.set _ZN2at6native12_GLOBAL__N_131replication_pad_backward_kernelIN3c108BFloat16EEEvN5torch10headeronly6detail27GenericPackedTensorAccessorINS7_14TensorAccessorINS3_8ArrayRefIlEET_Lm3ENS6_16DefaultPtrTraitsElEENS_6detail16IndexBoundsCheckILm4ElEESC_Lm4ESD_lEENS8_INS9_ISB_KSC_Lm3ESD_lEESH_SJ_Lm4ESD_lEEiiii.has_indirect_call, 0
	.section	.AMDGPU.csdata,"",@progbits
; Kernel info:
; codeLenInByte = 1568
; TotalNumSgprs: 34
; NumVgprs: 13
; ScratchSize: 0
; MemoryBound: 0
; FloatMode: 240
; IeeeMode: 1
; LDSByteSize: 0 bytes/workgroup (compile time only)
; SGPRBlocks: 4
; VGPRBlocks: 3
; NumSGPRsForWavesPerEU: 34
; NumVGPRsForWavesPerEU: 13
; Occupancy: 10
; WaveLimiterHint : 1
; COMPUTE_PGM_RSRC2:SCRATCH_EN: 0
; COMPUTE_PGM_RSRC2:USER_SGPR: 6
; COMPUTE_PGM_RSRC2:TRAP_HANDLER: 0
; COMPUTE_PGM_RSRC2:TGID_X_EN: 1
; COMPUTE_PGM_RSRC2:TGID_Y_EN: 1
; COMPUTE_PGM_RSRC2:TGID_Z_EN: 1
; COMPUTE_PGM_RSRC2:TIDIG_COMP_CNT: 0
	.section	.text._ZN2at6native12_GLOBAL__N_131replication_pad_backward_kernelIdEEvN5torch10headeronly6detail27GenericPackedTensorAccessorINS5_14TensorAccessorIN3c108ArrayRefIlEET_Lm4ENS4_16DefaultPtrTraitsElEENS_6detail16IndexBoundsCheckILm5ElEESB_Lm5ESC_lEENS6_INS7_ISA_KSB_Lm4ESC_lEESG_SI_Lm5ESC_lEEiiiii,"axG",@progbits,_ZN2at6native12_GLOBAL__N_131replication_pad_backward_kernelIdEEvN5torch10headeronly6detail27GenericPackedTensorAccessorINS5_14TensorAccessorIN3c108ArrayRefIlEET_Lm4ENS4_16DefaultPtrTraitsElEENS_6detail16IndexBoundsCheckILm5ElEESB_Lm5ESC_lEENS6_INS7_ISA_KSB_Lm4ESC_lEESG_SI_Lm5ESC_lEEiiiii,comdat
	.globl	_ZN2at6native12_GLOBAL__N_131replication_pad_backward_kernelIdEEvN5torch10headeronly6detail27GenericPackedTensorAccessorINS5_14TensorAccessorIN3c108ArrayRefIlEET_Lm4ENS4_16DefaultPtrTraitsElEENS_6detail16IndexBoundsCheckILm5ElEESB_Lm5ESC_lEENS6_INS7_ISA_KSB_Lm4ESC_lEESG_SI_Lm5ESC_lEEiiiii ; -- Begin function _ZN2at6native12_GLOBAL__N_131replication_pad_backward_kernelIdEEvN5torch10headeronly6detail27GenericPackedTensorAccessorINS5_14TensorAccessorIN3c108ArrayRefIlEET_Lm4ENS4_16DefaultPtrTraitsElEENS_6detail16IndexBoundsCheckILm5ElEESB_Lm5ESC_lEENS6_INS7_ISA_KSB_Lm4ESC_lEESG_SI_Lm5ESC_lEEiiiii
	.p2align	8
	.type	_ZN2at6native12_GLOBAL__N_131replication_pad_backward_kernelIdEEvN5torch10headeronly6detail27GenericPackedTensorAccessorINS5_14TensorAccessorIN3c108ArrayRefIlEET_Lm4ENS4_16DefaultPtrTraitsElEENS_6detail16IndexBoundsCheckILm5ElEESB_Lm5ESC_lEENS6_INS7_ISA_KSB_Lm4ESC_lEESG_SI_Lm5ESC_lEEiiiii,@function
_ZN2at6native12_GLOBAL__N_131replication_pad_backward_kernelIdEEvN5torch10headeronly6detail27GenericPackedTensorAccessorINS5_14TensorAccessorIN3c108ArrayRefIlEET_Lm4ENS4_16DefaultPtrTraitsElEENS_6detail16IndexBoundsCheckILm5ElEESB_Lm5ESC_lEENS6_INS7_ISA_KSB_Lm4ESC_lEESG_SI_Lm5ESC_lEEiiiii: ; @_ZN2at6native12_GLOBAL__N_131replication_pad_backward_kernelIdEEvN5torch10headeronly6detail27GenericPackedTensorAccessorINS5_14TensorAccessorIN3c108ArrayRefIlEET_Lm4ENS4_16DefaultPtrTraitsElEENS_6detail16IndexBoundsCheckILm5ElEESB_Lm5ESC_lEENS6_INS7_ISA_KSB_Lm4ESC_lEESG_SI_Lm5ESC_lEEiiiii
; %bb.0:
	s_load_dword s9, s[4:5], 0xd4
	s_load_dwordx4 s[0:3], s[4:5], 0x70
	s_load_dwordx2 s[10:11], s[4:5], 0x80
	s_waitcnt lgkmcnt(0)
	s_and_b32 s9, s9, 0xffff
	s_mul_i32 s6, s6, s9
	v_add_u32_e32 v0, s6, v0
	s_mul_i32 s6, s10, s3
	s_mul_hi_u32 s9, s10, s2
	s_add_i32 s9, s9, s6
	s_mul_i32 s6, s11, s2
	s_add_i32 s9, s9, s6
	s_mul_i32 s6, s10, s2
	s_mul_i32 s1, s6, s1
	s_mul_hi_u32 s12, s6, s0
	s_add_i32 s1, s12, s1
	s_mul_i32 s12, s9, s0
	v_ashrrev_i32_e32 v1, 31, v0
	s_add_i32 s1, s1, s12
	s_mul_i32 s0, s6, s0
	v_cmp_gt_i64_e32 vcc, s[0:1], v[0:1]
	s_and_saveexec_b64 s[0:1], vcc
	s_cbranch_execz .LBB6_15
; %bb.1:
	v_or_b32_e32 v3, s11, v1
	v_mov_b32_e32 v2, 0
	v_cmp_ne_u64_e32 vcc, 0, v[2:3]
	v_ashrrev_i32_e32 v7, 31, v1
                                        ; implicit-def: $vgpr2_vgpr3
	s_and_saveexec_b64 s[0:1], vcc
	s_xor_b64 s[12:13], exec, s[0:1]
	s_cbranch_execz .LBB6_3
; %bb.2:
	s_ashr_i32 s14, s11, 31
	s_add_u32 s0, s10, s14
	s_mov_b32 s15, s14
	s_addc_u32 s1, s11, s14
	s_xor_b64 s[16:17], s[0:1], s[14:15]
	v_cvt_f32_u32_e32 v2, s16
	v_cvt_f32_u32_e32 v3, s17
	s_sub_u32 s15, 0, s16
	s_subb_u32 s18, 0, s17
	v_madmk_f32 v2, v3, 0x4f800000, v2
	v_rcp_f32_e32 v2, v2
	v_mul_f32_e32 v2, 0x5f7ffffc, v2
	v_mul_f32_e32 v3, 0x2f800000, v2
	v_trunc_f32_e32 v3, v3
	v_madmk_f32 v2, v3, 0xcf800000, v2
	v_cvt_u32_f32_e32 v3, v3
	v_cvt_u32_f32_e32 v2, v2
	v_readfirstlane_b32 s19, v3
	v_readfirstlane_b32 s0, v2
	s_mul_i32 s1, s15, s19
	s_mul_hi_u32 s21, s15, s0
	s_mul_i32 s20, s18, s0
	s_add_i32 s1, s21, s1
	s_add_i32 s1, s1, s20
	s_mul_i32 s22, s15, s0
	s_mul_i32 s21, s0, s1
	s_mul_hi_u32 s23, s0, s22
	s_mul_hi_u32 s20, s0, s1
	s_add_u32 s21, s23, s21
	s_addc_u32 s20, 0, s20
	s_mul_hi_u32 s24, s19, s22
	s_mul_i32 s22, s19, s22
	s_add_u32 s21, s21, s22
	s_mul_hi_u32 s23, s19, s1
	s_addc_u32 s20, s20, s24
	s_addc_u32 s21, s23, 0
	s_mul_i32 s1, s19, s1
	s_add_u32 s1, s20, s1
	s_addc_u32 s20, 0, s21
	s_add_u32 s21, s0, s1
	s_cselect_b64 s[0:1], -1, 0
	s_cmp_lg_u64 s[0:1], 0
	s_addc_u32 s19, s19, s20
	s_mul_i32 s0, s15, s19
	s_mul_hi_u32 s1, s15, s21
	s_add_i32 s0, s1, s0
	s_mul_i32 s18, s18, s21
	s_add_i32 s0, s0, s18
	s_mul_i32 s15, s15, s21
	s_mul_hi_u32 s18, s19, s15
	s_mul_i32 s20, s19, s15
	s_mul_i32 s23, s21, s0
	s_mul_hi_u32 s15, s21, s15
	s_mul_hi_u32 s22, s21, s0
	s_add_u32 s15, s15, s23
	s_addc_u32 s22, 0, s22
	s_add_u32 s15, s15, s20
	s_mul_hi_u32 s1, s19, s0
	s_addc_u32 s15, s22, s18
	s_addc_u32 s1, s1, 0
	s_mul_i32 s0, s19, s0
	s_add_u32 s0, s15, s0
	s_addc_u32 s15, 0, s1
	s_add_u32 s18, s21, s0
	s_cselect_b64 s[0:1], -1, 0
	s_cmp_lg_u64 s[0:1], 0
	v_add_co_u32_e32 v2, vcc, v0, v7
	s_addc_u32 s15, s19, s15
	v_xor_b32_e32 v6, v2, v7
	v_mad_u64_u32 v[2:3], s[0:1], v6, s15, 0
	v_mul_hi_u32 v5, v6, s18
	v_addc_co_u32_e32 v4, vcc, v1, v7, vcc
	v_xor_b32_e32 v8, v4, v7
	v_add_co_u32_e32 v9, vcc, v5, v2
	v_addc_co_u32_e32 v10, vcc, 0, v3, vcc
	v_mad_u64_u32 v[2:3], s[0:1], v8, s18, 0
	v_mad_u64_u32 v[4:5], s[0:1], v8, s15, 0
	v_add_co_u32_e32 v2, vcc, v9, v2
	v_addc_co_u32_e32 v2, vcc, v10, v3, vcc
	v_addc_co_u32_e32 v3, vcc, 0, v5, vcc
	v_add_co_u32_e32 v4, vcc, v2, v4
	v_addc_co_u32_e32 v5, vcc, 0, v3, vcc
	v_mul_lo_u32 v9, s17, v4
	v_mul_lo_u32 v10, s16, v5
	v_mad_u64_u32 v[2:3], s[0:1], s16, v4, 0
	v_add3_u32 v3, v3, v10, v9
	v_sub_u32_e32 v9, v8, v3
	v_mov_b32_e32 v10, s17
	v_sub_co_u32_e32 v2, vcc, v6, v2
	v_subb_co_u32_e64 v6, s[0:1], v9, v10, vcc
	v_subrev_co_u32_e64 v9, s[0:1], s16, v2
	v_subbrev_co_u32_e64 v6, s[0:1], 0, v6, s[0:1]
	v_cmp_le_u32_e64 s[0:1], s17, v6
	v_cndmask_b32_e64 v10, 0, -1, s[0:1]
	v_cmp_le_u32_e64 s[0:1], s16, v9
	v_cndmask_b32_e64 v9, 0, -1, s[0:1]
	v_cmp_eq_u32_e64 s[0:1], s17, v6
	v_cndmask_b32_e64 v6, v10, v9, s[0:1]
	v_add_co_u32_e64 v9, s[0:1], 2, v4
	v_subb_co_u32_e32 v3, vcc, v8, v3, vcc
	v_addc_co_u32_e64 v10, s[0:1], 0, v5, s[0:1]
	v_cmp_le_u32_e32 vcc, s17, v3
	v_add_co_u32_e64 v11, s[0:1], 1, v4
	v_cndmask_b32_e64 v8, 0, -1, vcc
	v_cmp_le_u32_e32 vcc, s16, v2
	v_addc_co_u32_e64 v12, s[0:1], 0, v5, s[0:1]
	v_cndmask_b32_e64 v2, 0, -1, vcc
	v_cmp_eq_u32_e32 vcc, s17, v3
	v_cmp_ne_u32_e64 s[0:1], 0, v6
	v_cndmask_b32_e32 v2, v8, v2, vcc
	v_cndmask_b32_e64 v6, v12, v10, s[0:1]
	v_cmp_ne_u32_e32 vcc, 0, v2
	v_cndmask_b32_e64 v3, v11, v9, s[0:1]
	v_cndmask_b32_e32 v2, v5, v6, vcc
	v_cndmask_b32_e32 v3, v4, v3, vcc
	v_xor_b32_e32 v4, s14, v7
	v_xor_b32_e32 v5, v2, v4
	;; [unrolled: 1-line block ×3, first 2 shown]
	v_sub_co_u32_e32 v2, vcc, v2, v4
	v_subb_co_u32_e32 v3, vcc, v5, v4, vcc
.LBB6_3:
	s_andn2_saveexec_b64 s[0:1], s[12:13]
	s_cbranch_execz .LBB6_5
; %bb.4:
	v_cvt_f32_u32_e32 v2, s10
	s_sub_i32 s12, 0, s10
	v_rcp_iflag_f32_e32 v2, v2
	v_mul_f32_e32 v2, 0x4f7ffffe, v2
	v_cvt_u32_f32_e32 v2, v2
	v_mul_lo_u32 v3, s12, v2
	v_mul_hi_u32 v3, v2, v3
	v_add_u32_e32 v2, v2, v3
	v_mul_hi_u32 v2, v0, v2
	v_mul_lo_u32 v3, v2, s10
	v_add_u32_e32 v4, 1, v2
	v_sub_u32_e32 v3, v0, v3
	v_subrev_u32_e32 v5, s10, v3
	v_cmp_le_u32_e32 vcc, s10, v3
	v_cndmask_b32_e32 v3, v3, v5, vcc
	v_cndmask_b32_e32 v2, v2, v4, vcc
	v_add_u32_e32 v4, 1, v2
	v_cmp_le_u32_e32 vcc, s10, v3
	v_cndmask_b32_e32 v2, v2, v4, vcc
	v_mov_b32_e32 v3, 0
.LBB6_5:
	s_or_b64 exec, exec, s[0:1]
	v_or_b32_e32 v5, s3, v3
	v_mov_b32_e32 v4, 0
	v_cmp_ne_u64_e32 vcc, 0, v[4:5]
                                        ; implicit-def: $vgpr4_vgpr5
	s_and_saveexec_b64 s[0:1], vcc
	s_xor_b64 s[12:13], exec, s[0:1]
	s_cbranch_execz .LBB6_7
; %bb.6:
	s_ashr_i32 s0, s3, 31
	s_add_u32 s14, s2, s0
	s_mov_b32 s1, s0
	s_addc_u32 s15, s3, s0
	s_xor_b64 s[14:15], s[14:15], s[0:1]
	v_cvt_f32_u32_e32 v4, s14
	v_cvt_f32_u32_e32 v5, s15
	s_sub_u32 s3, 0, s14
	s_subb_u32 s16, 0, s15
	v_ashrrev_i32_e32 v6, 31, v3
	v_madmk_f32 v4, v5, 0x4f800000, v4
	v_rcp_f32_e32 v4, v4
	v_mul_f32_e32 v4, 0x5f7ffffc, v4
	v_mul_f32_e32 v5, 0x2f800000, v4
	v_trunc_f32_e32 v5, v5
	v_madmk_f32 v4, v5, 0xcf800000, v4
	v_cvt_u32_f32_e32 v5, v5
	v_cvt_u32_f32_e32 v4, v4
	v_readfirstlane_b32 s17, v5
	v_readfirstlane_b32 s0, v4
	s_mul_i32 s1, s3, s17
	s_mul_hi_u32 s19, s3, s0
	s_mul_i32 s18, s16, s0
	s_add_i32 s1, s19, s1
	s_add_i32 s1, s1, s18
	s_mul_i32 s20, s3, s0
	s_mul_i32 s19, s0, s1
	s_mul_hi_u32 s21, s0, s20
	s_mul_hi_u32 s18, s0, s1
	s_add_u32 s19, s21, s19
	s_addc_u32 s18, 0, s18
	s_mul_hi_u32 s22, s17, s20
	s_mul_i32 s20, s17, s20
	s_add_u32 s19, s19, s20
	s_mul_hi_u32 s21, s17, s1
	s_addc_u32 s18, s18, s22
	s_addc_u32 s19, s21, 0
	s_mul_i32 s1, s17, s1
	s_add_u32 s1, s18, s1
	s_addc_u32 s18, 0, s19
	s_add_u32 s19, s0, s1
	s_cselect_b64 s[0:1], -1, 0
	s_cmp_lg_u64 s[0:1], 0
	s_addc_u32 s17, s17, s18
	s_mul_i32 s0, s3, s17
	s_mul_hi_u32 s1, s3, s19
	s_add_i32 s0, s1, s0
	s_mul_i32 s16, s16, s19
	s_add_i32 s0, s0, s16
	s_mul_i32 s3, s3, s19
	s_mul_hi_u32 s16, s17, s3
	s_mul_i32 s18, s17, s3
	s_mul_i32 s21, s19, s0
	s_mul_hi_u32 s3, s19, s3
	s_mul_hi_u32 s20, s19, s0
	s_add_u32 s3, s3, s21
	s_addc_u32 s20, 0, s20
	s_add_u32 s3, s3, s18
	s_mul_hi_u32 s1, s17, s0
	s_addc_u32 s3, s20, s16
	s_addc_u32 s1, s1, 0
	s_mul_i32 s0, s17, s0
	s_add_u32 s0, s3, s0
	s_addc_u32 s3, 0, s1
	s_add_u32 s16, s19, s0
	s_cselect_b64 s[0:1], -1, 0
	s_cmp_lg_u64 s[0:1], 0
	v_add_co_u32_e32 v4, vcc, v2, v6
	s_addc_u32 s3, s17, s3
	v_xor_b32_e32 v10, v4, v6
	v_mad_u64_u32 v[4:5], s[0:1], v10, s3, 0
	v_mul_hi_u32 v9, v10, s16
	v_addc_co_u32_e32 v8, vcc, v3, v6, vcc
	v_xor_b32_e32 v11, v8, v6
	v_add_co_u32_e32 v12, vcc, v9, v4
	v_addc_co_u32_e32 v13, vcc, 0, v5, vcc
	v_mad_u64_u32 v[4:5], s[0:1], v11, s16, 0
	v_mad_u64_u32 v[8:9], s[0:1], v11, s3, 0
	v_add_co_u32_e32 v4, vcc, v12, v4
	v_addc_co_u32_e32 v4, vcc, v13, v5, vcc
	v_addc_co_u32_e32 v5, vcc, 0, v9, vcc
	v_add_co_u32_e32 v4, vcc, v4, v8
	v_addc_co_u32_e32 v5, vcc, 0, v5, vcc
	v_mul_lo_u32 v8, s15, v4
	v_mul_lo_u32 v9, s14, v5
	v_mad_u64_u32 v[4:5], s[0:1], s14, v4, 0
	v_add3_u32 v5, v5, v9, v8
	v_sub_u32_e32 v8, v11, v5
	v_mov_b32_e32 v9, s15
	v_sub_co_u32_e32 v4, vcc, v10, v4
	v_subb_co_u32_e64 v8, s[0:1], v8, v9, vcc
	v_subrev_co_u32_e64 v9, s[0:1], s14, v4
	v_subbrev_co_u32_e64 v8, s[0:1], 0, v8, s[0:1]
	v_cmp_le_u32_e64 s[0:1], s15, v8
	v_subb_co_u32_e32 v5, vcc, v11, v5, vcc
	v_cndmask_b32_e64 v10, 0, -1, s[0:1]
	v_cmp_le_u32_e64 s[0:1], s14, v9
	v_cmp_le_u32_e32 vcc, s15, v5
	v_cndmask_b32_e64 v12, 0, -1, s[0:1]
	v_cmp_eq_u32_e64 s[0:1], s15, v8
	v_cndmask_b32_e64 v11, 0, -1, vcc
	v_cmp_le_u32_e32 vcc, s14, v4
	v_cndmask_b32_e64 v8, v10, v12, s[0:1]
	v_cndmask_b32_e64 v12, 0, -1, vcc
	v_cmp_eq_u32_e32 vcc, s15, v5
	v_subrev_co_u32_e64 v10, s[0:1], s14, v9
	v_cndmask_b32_e32 v5, v11, v12, vcc
	v_cmp_ne_u32_e32 vcc, 0, v8
	v_cndmask_b32_e32 v8, v9, v10, vcc
	v_cmp_ne_u32_e32 vcc, 0, v5
	v_cndmask_b32_e32 v4, v4, v8, vcc
	v_xor_b32_e32 v4, v4, v6
	v_sub_co_u32_e32 v4, vcc, v4, v6
.LBB6_7:
	s_andn2_saveexec_b64 s[0:1], s[12:13]
	s_cbranch_execz .LBB6_9
; %bb.8:
	v_cvt_f32_u32_e32 v4, s2
	s_sub_i32 s3, 0, s2
	v_rcp_iflag_f32_e32 v4, v4
	v_mul_f32_e32 v4, 0x4f7ffffe, v4
	v_cvt_u32_f32_e32 v4, v4
	v_mul_lo_u32 v5, s3, v4
	v_mul_hi_u32 v5, v4, v5
	v_add_u32_e32 v4, v4, v5
	v_mul_hi_u32 v4, v2, v4
	v_mul_lo_u32 v4, v4, s2
	v_sub_u32_e32 v4, v2, v4
	v_subrev_u32_e32 v5, s2, v4
	v_cmp_le_u32_e32 vcc, s2, v4
	v_cndmask_b32_e32 v4, v4, v5, vcc
	v_subrev_u32_e32 v5, s2, v4
	v_cmp_le_u32_e32 vcc, s2, v4
	v_cndmask_b32_e32 v4, v4, v5, vcc
.LBB6_9:
	s_or_b64 exec, exec, s[0:1]
	v_or_b32_e32 v6, s9, v1
	v_mov_b32_e32 v5, 0
	v_cmp_ne_u64_e32 vcc, 0, v[5:6]
                                        ; implicit-def: $vgpr5_vgpr6
	s_and_saveexec_b64 s[0:1], vcc
	s_xor_b64 s[2:3], exec, s[0:1]
	s_cbranch_execz .LBB6_11
; %bb.10:
	s_ashr_i32 s12, s9, 31
	s_add_u32 s0, s6, s12
	s_mov_b32 s13, s12
	s_addc_u32 s1, s9, s12
	s_xor_b64 s[14:15], s[0:1], s[12:13]
	v_cvt_f32_u32_e32 v5, s14
	v_cvt_f32_u32_e32 v6, s15
	s_sub_u32 s9, 0, s14
	s_subb_u32 s13, 0, s15
	v_madmk_f32 v5, v6, 0x4f800000, v5
	v_rcp_f32_e32 v5, v5
	v_mul_f32_e32 v5, 0x5f7ffffc, v5
	v_mul_f32_e32 v6, 0x2f800000, v5
	v_trunc_f32_e32 v6, v6
	v_madmk_f32 v5, v6, 0xcf800000, v5
	v_cvt_u32_f32_e32 v6, v6
	v_cvt_u32_f32_e32 v5, v5
	v_readfirstlane_b32 s16, v6
	v_readfirstlane_b32 s0, v5
	s_mul_i32 s1, s9, s16
	s_mul_hi_u32 s18, s9, s0
	s_mul_i32 s17, s13, s0
	s_add_i32 s1, s18, s1
	s_add_i32 s1, s1, s17
	s_mul_i32 s19, s9, s0
	s_mul_i32 s18, s0, s1
	s_mul_hi_u32 s20, s0, s19
	s_mul_hi_u32 s17, s0, s1
	s_add_u32 s18, s20, s18
	s_addc_u32 s17, 0, s17
	s_mul_hi_u32 s21, s16, s19
	s_mul_i32 s19, s16, s19
	s_add_u32 s18, s18, s19
	s_mul_hi_u32 s20, s16, s1
	s_addc_u32 s17, s17, s21
	s_addc_u32 s18, s20, 0
	s_mul_i32 s1, s16, s1
	s_add_u32 s1, s17, s1
	s_addc_u32 s17, 0, s18
	s_add_u32 s18, s0, s1
	s_cselect_b64 s[0:1], -1, 0
	s_cmp_lg_u64 s[0:1], 0
	s_addc_u32 s16, s16, s17
	s_mul_i32 s0, s9, s16
	s_mul_hi_u32 s1, s9, s18
	s_add_i32 s0, s1, s0
	s_mul_i32 s13, s13, s18
	s_add_i32 s0, s0, s13
	s_mul_i32 s9, s9, s18
	s_mul_hi_u32 s13, s16, s9
	s_mul_i32 s17, s16, s9
	s_mul_i32 s20, s18, s0
	s_mul_hi_u32 s9, s18, s9
	s_mul_hi_u32 s19, s18, s0
	s_add_u32 s9, s9, s20
	s_addc_u32 s19, 0, s19
	s_add_u32 s9, s9, s17
	s_mul_hi_u32 s1, s16, s0
	s_addc_u32 s9, s19, s13
	s_addc_u32 s1, s1, 0
	s_mul_i32 s0, s16, s0
	s_add_u32 s0, s9, s0
	s_addc_u32 s9, 0, s1
	s_add_u32 s13, s18, s0
	s_cselect_b64 s[0:1], -1, 0
	s_cmp_lg_u64 s[0:1], 0
	v_add_co_u32_e32 v5, vcc, v0, v7
	s_addc_u32 s9, s16, s9
	v_xor_b32_e32 v10, v5, v7
	v_mad_u64_u32 v[5:6], s[0:1], v10, s9, 0
	v_mul_hi_u32 v9, v10, s13
	v_addc_co_u32_e32 v8, vcc, v1, v7, vcc
	v_xor_b32_e32 v11, v8, v7
	v_add_co_u32_e32 v12, vcc, v9, v5
	v_addc_co_u32_e32 v13, vcc, 0, v6, vcc
	v_mad_u64_u32 v[5:6], s[0:1], v11, s13, 0
	v_mad_u64_u32 v[8:9], s[0:1], v11, s9, 0
	v_add_co_u32_e32 v5, vcc, v12, v5
	v_addc_co_u32_e32 v5, vcc, v13, v6, vcc
	v_addc_co_u32_e32 v6, vcc, 0, v9, vcc
	v_add_co_u32_e32 v8, vcc, v5, v8
	v_addc_co_u32_e32 v5, vcc, 0, v6, vcc
	v_mul_lo_u32 v9, s15, v8
	v_mul_lo_u32 v12, s14, v5
	v_mad_u64_u32 v[5:6], s[0:1], s14, v8, 0
	v_add3_u32 v6, v6, v12, v9
	v_sub_u32_e32 v9, v11, v6
	v_mov_b32_e32 v12, s15
	v_sub_co_u32_e32 v5, vcc, v10, v5
	v_subb_co_u32_e64 v9, s[0:1], v9, v12, vcc
	v_subrev_co_u32_e64 v10, s[0:1], s14, v5
	v_subbrev_co_u32_e64 v9, s[0:1], 0, v9, s[0:1]
	v_cmp_le_u32_e64 s[0:1], s15, v9
	v_subb_co_u32_e32 v6, vcc, v11, v6, vcc
	v_cndmask_b32_e64 v12, 0, -1, s[0:1]
	v_cmp_le_u32_e64 s[0:1], s14, v10
	v_cmp_le_u32_e32 vcc, s15, v6
	v_cndmask_b32_e64 v10, 0, -1, s[0:1]
	v_cmp_eq_u32_e64 s[0:1], s15, v9
	v_cndmask_b32_e64 v11, 0, -1, vcc
	v_cmp_le_u32_e32 vcc, s14, v5
	v_cndmask_b32_e64 v9, v12, v10, s[0:1]
	v_cndmask_b32_e64 v5, 0, -1, vcc
	v_cmp_eq_u32_e32 vcc, s15, v6
	v_add_co_u32_e64 v10, s[0:1], 2, v8
	v_add_co_u32_e64 v12, s[0:1], 1, v8
	v_cndmask_b32_e32 v5, v11, v5, vcc
	v_cmp_ne_u32_e32 vcc, 0, v9
	v_cndmask_b32_e32 v6, v12, v10, vcc
	v_cmp_ne_u32_e32 vcc, 0, v5
	v_cndmask_b32_e32 v5, v8, v6, vcc
	v_xor_b32_e32 v6, s12, v7
	v_xor_b32_e32 v5, v5, v6
	v_sub_co_u32_e32 v5, vcc, v5, v6
.LBB6_11:
	s_andn2_saveexec_b64 s[0:1], s[2:3]
	s_cbranch_execz .LBB6_13
; %bb.12:
	v_cvt_f32_u32_e32 v5, s6
	s_sub_i32 s2, 0, s6
	v_rcp_iflag_f32_e32 v5, v5
	v_mul_f32_e32 v5, 0x4f7ffffe, v5
	v_cvt_u32_f32_e32 v5, v5
	v_mul_lo_u32 v6, s2, v5
	v_mul_hi_u32 v6, v5, v6
	v_add_u32_e32 v5, v5, v6
	v_mul_hi_u32 v5, v0, v5
	v_mul_lo_u32 v6, v5, s6
	v_add_u32_e32 v7, 1, v5
	v_sub_u32_e32 v6, v0, v6
	v_subrev_u32_e32 v8, s6, v6
	v_cmp_le_u32_e32 vcc, s6, v6
	v_cndmask_b32_e32 v6, v6, v8, vcc
	v_cndmask_b32_e32 v5, v5, v7, vcc
	v_add_u32_e32 v7, 1, v5
	v_cmp_le_u32_e32 vcc, s6, v6
	v_cndmask_b32_e32 v5, v5, v7, vcc
.LBB6_13:
	s_or_b64 exec, exec, s[0:1]
	v_mul_lo_u32 v6, v3, s10
	v_mul_lo_u32 v7, v2, s11
	v_mad_u64_u32 v[2:3], s[0:1], v2, s10, 0
	s_load_dwordx4 s[0:3], s[4:5], 0xb0
	s_load_dword s6, s[4:5], 0xc0
	s_load_dwordx2 s[34:35], s[4:5], 0xa8
	v_add3_u32 v3, v3, v7, v6
	v_sub_co_u32_e32 v6, vcc, v0, v2
	s_waitcnt lgkmcnt(0)
	s_add_i32 s33, s6, s8
	s_load_dwordx16 s[8:23], s[4:5], 0x18
	v_subb_co_u32_e32 v7, vcc, v1, v3, vcc
	s_add_i32 s36, s3, s7
	s_sub_i32 s3, 0, s2
	s_sub_i32 s6, 0, s1
	s_max_i32 s25, s2, 0
	s_waitcnt lgkmcnt(0)
	s_max_i32 s9, s1, 0
	v_max_i32_e32 v0, s2, v6
	s_add_i32 s2, s2, s12
	v_max_i32_e32 v1, s1, v4
	s_add_i32 s1, s1, s10
	s_max_i32 s3, s3, 0
	s_max_i32 s24, s6, 0
	s_add_i32 s2, s2, -1
	s_add_i32 s1, s1, -1
	v_min_i32_e32 v0, s2, v0
	s_sub_i32 s2, s3, s25
	v_min_i32_e32 v1, s1, v1
	s_sub_i32 s1, s24, s9
	s_load_dwordx8 s[24:31], s[4:5], 0x88
	s_sub_i32 s6, 0, s0
	s_max_i32 s11, s0, 0
	v_add_u32_e32 v8, s1, v1
	v_max_i32_e32 v1, s0, v5
	s_add_i32 s0, s0, s8
	s_max_i32 s37, s6, 0
	s_add_i32 s0, s0, -1
	v_min_i32_e32 v1, s0, v1
	s_sub_i32 s0, s37, s11
	v_add_u32_e32 v9, s0, v1
	s_ashr_i32 s8, s33, 31
	s_load_dwordx2 s[0:1], s[4:5], 0x58
	v_add_u32_e32 v0, s2, v0
	s_waitcnt lgkmcnt(0)
	s_mul_i32 s2, s24, s8
	s_mul_hi_u32 s3, s24, s33
	s_add_i32 s2, s3, s2
	s_mul_i32 s3, s25, s33
	s_add_i32 s3, s2, s3
	s_mul_i32 s2, s24, s33
	s_lshl_b64 s[2:3], s[2:3], 3
	s_load_dwordx2 s[6:7], s[4:5], 0x0
	s_add_u32 s4, s0, s2
	s_addc_u32 s5, s1, s3
	s_ashr_i32 s9, s36, 31
	s_mul_i32 s0, s26, s9
	s_mul_hi_u32 s1, s26, s36
	v_ashrrev_i32_e32 v1, 31, v5
	s_add_i32 s0, s1, s0
	s_mul_i32 s1, s27, s36
	v_mul_lo_u32 v3, s29, v5
	v_mul_lo_u32 v10, s28, v1
	v_mad_u64_u32 v[1:2], s[2:3], s28, v5, 0
	s_add_i32 s1, s0, s1
	s_mul_i32 s0, s26, s36
	s_lshl_b64 s[0:1], s[0:1], 3
	s_add_u32 s2, s4, s0
	s_addc_u32 s0, s5, s1
	v_add3_u32 v2, v2, v10, v3
	v_ashrrev_i32_e32 v3, 31, v4
	v_mov_b32_e32 v5, s0
	v_mul_lo_u32 v10, s31, v4
	v_mul_lo_u32 v11, s30, v3
	v_mad_u64_u32 v[3:4], s[0:1], s30, v4, 0
	v_lshlrev_b64 v[1:2], 3, v[1:2]
	v_mul_lo_u32 v7, s34, v7
	v_add_co_u32_e32 v12, vcc, s2, v1
	v_add3_u32 v4, v4, v11, v10
	v_addc_co_u32_e32 v5, vcc, v5, v2, vcc
	v_lshlrev_b64 v[1:2], 3, v[3:4]
	v_mul_lo_u32 v10, s35, v6
	v_mad_u64_u32 v[3:4], s[0:1], s34, v6, 0
	v_add_co_u32_e32 v6, vcc, v12, v1
	v_add3_u32 v4, v4, v7, v10
	s_mul_i32 s0, s14, s8
	s_mul_hi_u32 s1, s14, s33
	v_addc_co_u32_e32 v5, vcc, v5, v2, vcc
	v_lshlrev_b64 v[1:2], 3, v[3:4]
	s_add_i32 s0, s1, s0
	s_mul_i32 s1, s15, s33
	s_add_i32 s1, s0, s1
	s_mul_i32 s0, s14, s33
	v_add_co_u32_e32 v1, vcc, v6, v1
	s_lshl_b64 s[0:1], s[0:1], 3
	v_addc_co_u32_e32 v2, vcc, v5, v2, vcc
	s_waitcnt lgkmcnt(0)
	s_add_u32 s4, s6, s0
	global_load_dwordx2 v[4:5], v[1:2], off
	s_addc_u32 s5, s7, s1
	s_mul_i32 s0, s16, s9
	s_mul_hi_u32 s1, s16, s36
	v_ashrrev_i32_e32 v1, 31, v9
	s_add_i32 s0, s1, s0
	s_mul_i32 s1, s17, s36
	v_mul_lo_u32 v3, s18, v1
	v_mul_lo_u32 v6, s19, v9
	v_mad_u64_u32 v[1:2], s[2:3], s18, v9, 0
	s_add_i32 s1, s0, s1
	s_mul_i32 s0, s16, s36
	s_lshl_b64 s[0:1], s[0:1], 3
	s_add_u32 s2, s4, s0
	s_addc_u32 s0, s5, s1
	v_add3_u32 v2, v2, v3, v6
	v_ashrrev_i32_e32 v6, 31, v8
	v_mov_b32_e32 v3, s0
	v_mul_lo_u32 v9, s20, v6
	v_mul_lo_u32 v10, s21, v8
	v_mad_u64_u32 v[6:7], s[0:1], s20, v8, 0
	v_lshlrev_b64 v[1:2], 3, v[1:2]
	v_add_co_u32_e32 v8, vcc, s2, v1
	v_add3_u32 v7, v7, v9, v10
	v_addc_co_u32_e32 v3, vcc, v3, v2, vcc
	v_lshlrev_b64 v[1:2], 3, v[6:7]
	v_ashrrev_i32_e32 v6, 31, v0
	v_mul_lo_u32 v9, s22, v6
	v_mul_lo_u32 v10, s23, v0
	v_mad_u64_u32 v[6:7], s[0:1], s22, v0, 0
	v_add_co_u32_e32 v8, vcc, v8, v1
	v_add3_u32 v7, v7, v9, v10
	v_lshlrev_b64 v[0:1], 3, v[6:7]
	v_addc_co_u32_e32 v2, vcc, v3, v2, vcc
	v_add_co_u32_e32 v6, vcc, v8, v0
	v_addc_co_u32_e32 v7, vcc, v2, v1, vcc
	global_load_dwordx2 v[2:3], v[6:7], off
	s_mov_b64 s[0:1], 0
.LBB6_14:                               ; =>This Inner Loop Header: Depth=1
	s_waitcnt vmcnt(0)
	v_add_f64 v[0:1], v[2:3], v[4:5]
	global_atomic_cmpswap_x2 v[0:1], v[6:7], v[0:3], off glc
	s_waitcnt vmcnt(0)
	v_cmp_eq_u64_e32 vcc, v[0:1], v[2:3]
	v_mov_b32_e32 v3, v1
	s_or_b64 s[0:1], vcc, s[0:1]
	v_mov_b32_e32 v2, v0
	s_andn2_b64 exec, exec, s[0:1]
	s_cbranch_execnz .LBB6_14
.LBB6_15:
	s_endpgm
	.section	.rodata,"a",@progbits
	.p2align	6, 0x0
	.amdhsa_kernel _ZN2at6native12_GLOBAL__N_131replication_pad_backward_kernelIdEEvN5torch10headeronly6detail27GenericPackedTensorAccessorINS5_14TensorAccessorIN3c108ArrayRefIlEET_Lm4ENS4_16DefaultPtrTraitsElEENS_6detail16IndexBoundsCheckILm5ElEESB_Lm5ESC_lEENS6_INS7_ISA_KSB_Lm4ESC_lEESG_SI_Lm5ESC_lEEiiiii
		.amdhsa_group_segment_fixed_size 0
		.amdhsa_private_segment_fixed_size 0
		.amdhsa_kernarg_size 456
		.amdhsa_user_sgpr_count 6
		.amdhsa_user_sgpr_private_segment_buffer 1
		.amdhsa_user_sgpr_dispatch_ptr 0
		.amdhsa_user_sgpr_queue_ptr 0
		.amdhsa_user_sgpr_kernarg_segment_ptr 1
		.amdhsa_user_sgpr_dispatch_id 0
		.amdhsa_user_sgpr_flat_scratch_init 0
		.amdhsa_user_sgpr_private_segment_size 0
		.amdhsa_uses_dynamic_stack 0
		.amdhsa_system_sgpr_private_segment_wavefront_offset 0
		.amdhsa_system_sgpr_workgroup_id_x 1
		.amdhsa_system_sgpr_workgroup_id_y 1
		.amdhsa_system_sgpr_workgroup_id_z 1
		.amdhsa_system_sgpr_workgroup_info 0
		.amdhsa_system_vgpr_workitem_id 0
		.amdhsa_next_free_vgpr 14
		.amdhsa_next_free_sgpr 38
		.amdhsa_reserve_vcc 1
		.amdhsa_reserve_flat_scratch 0
		.amdhsa_float_round_mode_32 0
		.amdhsa_float_round_mode_16_64 0
		.amdhsa_float_denorm_mode_32 3
		.amdhsa_float_denorm_mode_16_64 3
		.amdhsa_dx10_clamp 1
		.amdhsa_ieee_mode 1
		.amdhsa_fp16_overflow 0
		.amdhsa_exception_fp_ieee_invalid_op 0
		.amdhsa_exception_fp_denorm_src 0
		.amdhsa_exception_fp_ieee_div_zero 0
		.amdhsa_exception_fp_ieee_overflow 0
		.amdhsa_exception_fp_ieee_underflow 0
		.amdhsa_exception_fp_ieee_inexact 0
		.amdhsa_exception_int_div_zero 0
	.end_amdhsa_kernel
	.section	.text._ZN2at6native12_GLOBAL__N_131replication_pad_backward_kernelIdEEvN5torch10headeronly6detail27GenericPackedTensorAccessorINS5_14TensorAccessorIN3c108ArrayRefIlEET_Lm4ENS4_16DefaultPtrTraitsElEENS_6detail16IndexBoundsCheckILm5ElEESB_Lm5ESC_lEENS6_INS7_ISA_KSB_Lm4ESC_lEESG_SI_Lm5ESC_lEEiiiii,"axG",@progbits,_ZN2at6native12_GLOBAL__N_131replication_pad_backward_kernelIdEEvN5torch10headeronly6detail27GenericPackedTensorAccessorINS5_14TensorAccessorIN3c108ArrayRefIlEET_Lm4ENS4_16DefaultPtrTraitsElEENS_6detail16IndexBoundsCheckILm5ElEESB_Lm5ESC_lEENS6_INS7_ISA_KSB_Lm4ESC_lEESG_SI_Lm5ESC_lEEiiiii,comdat
.Lfunc_end6:
	.size	_ZN2at6native12_GLOBAL__N_131replication_pad_backward_kernelIdEEvN5torch10headeronly6detail27GenericPackedTensorAccessorINS5_14TensorAccessorIN3c108ArrayRefIlEET_Lm4ENS4_16DefaultPtrTraitsElEENS_6detail16IndexBoundsCheckILm5ElEESB_Lm5ESC_lEENS6_INS7_ISA_KSB_Lm4ESC_lEESG_SI_Lm5ESC_lEEiiiii, .Lfunc_end6-_ZN2at6native12_GLOBAL__N_131replication_pad_backward_kernelIdEEvN5torch10headeronly6detail27GenericPackedTensorAccessorINS5_14TensorAccessorIN3c108ArrayRefIlEET_Lm4ENS4_16DefaultPtrTraitsElEENS_6detail16IndexBoundsCheckILm5ElEESB_Lm5ESC_lEENS6_INS7_ISA_KSB_Lm4ESC_lEESG_SI_Lm5ESC_lEEiiiii
                                        ; -- End function
	.set _ZN2at6native12_GLOBAL__N_131replication_pad_backward_kernelIdEEvN5torch10headeronly6detail27GenericPackedTensorAccessorINS5_14TensorAccessorIN3c108ArrayRefIlEET_Lm4ENS4_16DefaultPtrTraitsElEENS_6detail16IndexBoundsCheckILm5ElEESB_Lm5ESC_lEENS6_INS7_ISA_KSB_Lm4ESC_lEESG_SI_Lm5ESC_lEEiiiii.num_vgpr, 14
	.set _ZN2at6native12_GLOBAL__N_131replication_pad_backward_kernelIdEEvN5torch10headeronly6detail27GenericPackedTensorAccessorINS5_14TensorAccessorIN3c108ArrayRefIlEET_Lm4ENS4_16DefaultPtrTraitsElEENS_6detail16IndexBoundsCheckILm5ElEESB_Lm5ESC_lEENS6_INS7_ISA_KSB_Lm4ESC_lEESG_SI_Lm5ESC_lEEiiiii.num_agpr, 0
	.set _ZN2at6native12_GLOBAL__N_131replication_pad_backward_kernelIdEEvN5torch10headeronly6detail27GenericPackedTensorAccessorINS5_14TensorAccessorIN3c108ArrayRefIlEET_Lm4ENS4_16DefaultPtrTraitsElEENS_6detail16IndexBoundsCheckILm5ElEESB_Lm5ESC_lEENS6_INS7_ISA_KSB_Lm4ESC_lEESG_SI_Lm5ESC_lEEiiiii.numbered_sgpr, 38
	.set _ZN2at6native12_GLOBAL__N_131replication_pad_backward_kernelIdEEvN5torch10headeronly6detail27GenericPackedTensorAccessorINS5_14TensorAccessorIN3c108ArrayRefIlEET_Lm4ENS4_16DefaultPtrTraitsElEENS_6detail16IndexBoundsCheckILm5ElEESB_Lm5ESC_lEENS6_INS7_ISA_KSB_Lm4ESC_lEESG_SI_Lm5ESC_lEEiiiii.num_named_barrier, 0
	.set _ZN2at6native12_GLOBAL__N_131replication_pad_backward_kernelIdEEvN5torch10headeronly6detail27GenericPackedTensorAccessorINS5_14TensorAccessorIN3c108ArrayRefIlEET_Lm4ENS4_16DefaultPtrTraitsElEENS_6detail16IndexBoundsCheckILm5ElEESB_Lm5ESC_lEENS6_INS7_ISA_KSB_Lm4ESC_lEESG_SI_Lm5ESC_lEEiiiii.private_seg_size, 0
	.set _ZN2at6native12_GLOBAL__N_131replication_pad_backward_kernelIdEEvN5torch10headeronly6detail27GenericPackedTensorAccessorINS5_14TensorAccessorIN3c108ArrayRefIlEET_Lm4ENS4_16DefaultPtrTraitsElEENS_6detail16IndexBoundsCheckILm5ElEESB_Lm5ESC_lEENS6_INS7_ISA_KSB_Lm4ESC_lEESG_SI_Lm5ESC_lEEiiiii.uses_vcc, 1
	.set _ZN2at6native12_GLOBAL__N_131replication_pad_backward_kernelIdEEvN5torch10headeronly6detail27GenericPackedTensorAccessorINS5_14TensorAccessorIN3c108ArrayRefIlEET_Lm4ENS4_16DefaultPtrTraitsElEENS_6detail16IndexBoundsCheckILm5ElEESB_Lm5ESC_lEENS6_INS7_ISA_KSB_Lm4ESC_lEESG_SI_Lm5ESC_lEEiiiii.uses_flat_scratch, 0
	.set _ZN2at6native12_GLOBAL__N_131replication_pad_backward_kernelIdEEvN5torch10headeronly6detail27GenericPackedTensorAccessorINS5_14TensorAccessorIN3c108ArrayRefIlEET_Lm4ENS4_16DefaultPtrTraitsElEENS_6detail16IndexBoundsCheckILm5ElEESB_Lm5ESC_lEENS6_INS7_ISA_KSB_Lm4ESC_lEESG_SI_Lm5ESC_lEEiiiii.has_dyn_sized_stack, 0
	.set _ZN2at6native12_GLOBAL__N_131replication_pad_backward_kernelIdEEvN5torch10headeronly6detail27GenericPackedTensorAccessorINS5_14TensorAccessorIN3c108ArrayRefIlEET_Lm4ENS4_16DefaultPtrTraitsElEENS_6detail16IndexBoundsCheckILm5ElEESB_Lm5ESC_lEENS6_INS7_ISA_KSB_Lm4ESC_lEESG_SI_Lm5ESC_lEEiiiii.has_recursion, 0
	.set _ZN2at6native12_GLOBAL__N_131replication_pad_backward_kernelIdEEvN5torch10headeronly6detail27GenericPackedTensorAccessorINS5_14TensorAccessorIN3c108ArrayRefIlEET_Lm4ENS4_16DefaultPtrTraitsElEENS_6detail16IndexBoundsCheckILm5ElEESB_Lm5ESC_lEENS6_INS7_ISA_KSB_Lm4ESC_lEESG_SI_Lm5ESC_lEEiiiii.has_indirect_call, 0
	.section	.AMDGPU.csdata,"",@progbits
; Kernel info:
; codeLenInByte = 3000
; TotalNumSgprs: 42
; NumVgprs: 14
; ScratchSize: 0
; MemoryBound: 0
; FloatMode: 240
; IeeeMode: 1
; LDSByteSize: 0 bytes/workgroup (compile time only)
; SGPRBlocks: 5
; VGPRBlocks: 3
; NumSGPRsForWavesPerEU: 42
; NumVGPRsForWavesPerEU: 14
; Occupancy: 10
; WaveLimiterHint : 1
; COMPUTE_PGM_RSRC2:SCRATCH_EN: 0
; COMPUTE_PGM_RSRC2:USER_SGPR: 6
; COMPUTE_PGM_RSRC2:TRAP_HANDLER: 0
; COMPUTE_PGM_RSRC2:TGID_X_EN: 1
; COMPUTE_PGM_RSRC2:TGID_Y_EN: 1
; COMPUTE_PGM_RSRC2:TGID_Z_EN: 1
; COMPUTE_PGM_RSRC2:TIDIG_COMP_CNT: 0
	.section	.text._ZN2at6native12_GLOBAL__N_131replication_pad_backward_kernelIfEEvN5torch10headeronly6detail27GenericPackedTensorAccessorINS5_14TensorAccessorIN3c108ArrayRefIlEET_Lm4ENS4_16DefaultPtrTraitsElEENS_6detail16IndexBoundsCheckILm5ElEESB_Lm5ESC_lEENS6_INS7_ISA_KSB_Lm4ESC_lEESG_SI_Lm5ESC_lEEiiiii,"axG",@progbits,_ZN2at6native12_GLOBAL__N_131replication_pad_backward_kernelIfEEvN5torch10headeronly6detail27GenericPackedTensorAccessorINS5_14TensorAccessorIN3c108ArrayRefIlEET_Lm4ENS4_16DefaultPtrTraitsElEENS_6detail16IndexBoundsCheckILm5ElEESB_Lm5ESC_lEENS6_INS7_ISA_KSB_Lm4ESC_lEESG_SI_Lm5ESC_lEEiiiii,comdat
	.globl	_ZN2at6native12_GLOBAL__N_131replication_pad_backward_kernelIfEEvN5torch10headeronly6detail27GenericPackedTensorAccessorINS5_14TensorAccessorIN3c108ArrayRefIlEET_Lm4ENS4_16DefaultPtrTraitsElEENS_6detail16IndexBoundsCheckILm5ElEESB_Lm5ESC_lEENS6_INS7_ISA_KSB_Lm4ESC_lEESG_SI_Lm5ESC_lEEiiiii ; -- Begin function _ZN2at6native12_GLOBAL__N_131replication_pad_backward_kernelIfEEvN5torch10headeronly6detail27GenericPackedTensorAccessorINS5_14TensorAccessorIN3c108ArrayRefIlEET_Lm4ENS4_16DefaultPtrTraitsElEENS_6detail16IndexBoundsCheckILm5ElEESB_Lm5ESC_lEENS6_INS7_ISA_KSB_Lm4ESC_lEESG_SI_Lm5ESC_lEEiiiii
	.p2align	8
	.type	_ZN2at6native12_GLOBAL__N_131replication_pad_backward_kernelIfEEvN5torch10headeronly6detail27GenericPackedTensorAccessorINS5_14TensorAccessorIN3c108ArrayRefIlEET_Lm4ENS4_16DefaultPtrTraitsElEENS_6detail16IndexBoundsCheckILm5ElEESB_Lm5ESC_lEENS6_INS7_ISA_KSB_Lm4ESC_lEESG_SI_Lm5ESC_lEEiiiii,@function
_ZN2at6native12_GLOBAL__N_131replication_pad_backward_kernelIfEEvN5torch10headeronly6detail27GenericPackedTensorAccessorINS5_14TensorAccessorIN3c108ArrayRefIlEET_Lm4ENS4_16DefaultPtrTraitsElEENS_6detail16IndexBoundsCheckILm5ElEESB_Lm5ESC_lEENS6_INS7_ISA_KSB_Lm4ESC_lEESG_SI_Lm5ESC_lEEiiiii: ; @_ZN2at6native12_GLOBAL__N_131replication_pad_backward_kernelIfEEvN5torch10headeronly6detail27GenericPackedTensorAccessorINS5_14TensorAccessorIN3c108ArrayRefIlEET_Lm4ENS4_16DefaultPtrTraitsElEENS_6detail16IndexBoundsCheckILm5ElEESB_Lm5ESC_lEENS6_INS7_ISA_KSB_Lm4ESC_lEESG_SI_Lm5ESC_lEEiiiii
; %bb.0:
	s_load_dword s9, s[4:5], 0xd4
	s_load_dwordx4 s[0:3], s[4:5], 0x70
	s_load_dwordx2 s[10:11], s[4:5], 0x80
	s_waitcnt lgkmcnt(0)
	s_and_b32 s9, s9, 0xffff
	s_mul_i32 s6, s6, s9
	v_add_u32_e32 v0, s6, v0
	s_mul_i32 s6, s10, s3
	s_mul_hi_u32 s9, s10, s2
	s_add_i32 s9, s9, s6
	s_mul_i32 s6, s11, s2
	s_add_i32 s9, s9, s6
	s_mul_i32 s6, s10, s2
	s_mul_i32 s1, s6, s1
	s_mul_hi_u32 s12, s6, s0
	s_add_i32 s1, s12, s1
	s_mul_i32 s12, s9, s0
	v_ashrrev_i32_e32 v1, 31, v0
	s_add_i32 s1, s1, s12
	s_mul_i32 s0, s6, s0
	v_cmp_gt_i64_e32 vcc, s[0:1], v[0:1]
	s_and_saveexec_b64 s[0:1], vcc
	s_cbranch_execz .LBB7_15
; %bb.1:
	v_or_b32_e32 v3, s11, v1
	v_mov_b32_e32 v2, 0
	v_cmp_ne_u64_e32 vcc, 0, v[2:3]
	v_ashrrev_i32_e32 v7, 31, v1
                                        ; implicit-def: $vgpr2_vgpr3
	s_and_saveexec_b64 s[0:1], vcc
	s_xor_b64 s[12:13], exec, s[0:1]
	s_cbranch_execz .LBB7_3
; %bb.2:
	s_ashr_i32 s14, s11, 31
	s_add_u32 s0, s10, s14
	s_mov_b32 s15, s14
	s_addc_u32 s1, s11, s14
	s_xor_b64 s[16:17], s[0:1], s[14:15]
	v_cvt_f32_u32_e32 v2, s16
	v_cvt_f32_u32_e32 v3, s17
	s_sub_u32 s15, 0, s16
	s_subb_u32 s18, 0, s17
	v_madmk_f32 v2, v3, 0x4f800000, v2
	v_rcp_f32_e32 v2, v2
	v_mul_f32_e32 v2, 0x5f7ffffc, v2
	v_mul_f32_e32 v3, 0x2f800000, v2
	v_trunc_f32_e32 v3, v3
	v_madmk_f32 v2, v3, 0xcf800000, v2
	v_cvt_u32_f32_e32 v3, v3
	v_cvt_u32_f32_e32 v2, v2
	v_readfirstlane_b32 s19, v3
	v_readfirstlane_b32 s0, v2
	s_mul_i32 s1, s15, s19
	s_mul_hi_u32 s21, s15, s0
	s_mul_i32 s20, s18, s0
	s_add_i32 s1, s21, s1
	s_add_i32 s1, s1, s20
	s_mul_i32 s22, s15, s0
	s_mul_i32 s21, s0, s1
	s_mul_hi_u32 s23, s0, s22
	s_mul_hi_u32 s20, s0, s1
	s_add_u32 s21, s23, s21
	s_addc_u32 s20, 0, s20
	s_mul_hi_u32 s24, s19, s22
	s_mul_i32 s22, s19, s22
	s_add_u32 s21, s21, s22
	s_mul_hi_u32 s23, s19, s1
	s_addc_u32 s20, s20, s24
	s_addc_u32 s21, s23, 0
	s_mul_i32 s1, s19, s1
	s_add_u32 s1, s20, s1
	s_addc_u32 s20, 0, s21
	s_add_u32 s21, s0, s1
	s_cselect_b64 s[0:1], -1, 0
	s_cmp_lg_u64 s[0:1], 0
	s_addc_u32 s19, s19, s20
	s_mul_i32 s0, s15, s19
	s_mul_hi_u32 s1, s15, s21
	s_add_i32 s0, s1, s0
	s_mul_i32 s18, s18, s21
	s_add_i32 s0, s0, s18
	s_mul_i32 s15, s15, s21
	s_mul_hi_u32 s18, s19, s15
	s_mul_i32 s20, s19, s15
	s_mul_i32 s23, s21, s0
	s_mul_hi_u32 s15, s21, s15
	s_mul_hi_u32 s22, s21, s0
	s_add_u32 s15, s15, s23
	s_addc_u32 s22, 0, s22
	s_add_u32 s15, s15, s20
	s_mul_hi_u32 s1, s19, s0
	s_addc_u32 s15, s22, s18
	s_addc_u32 s1, s1, 0
	s_mul_i32 s0, s19, s0
	s_add_u32 s0, s15, s0
	s_addc_u32 s15, 0, s1
	s_add_u32 s18, s21, s0
	s_cselect_b64 s[0:1], -1, 0
	s_cmp_lg_u64 s[0:1], 0
	v_add_co_u32_e32 v2, vcc, v0, v7
	s_addc_u32 s15, s19, s15
	v_xor_b32_e32 v6, v2, v7
	v_mad_u64_u32 v[2:3], s[0:1], v6, s15, 0
	v_mul_hi_u32 v5, v6, s18
	v_addc_co_u32_e32 v4, vcc, v1, v7, vcc
	v_xor_b32_e32 v8, v4, v7
	v_add_co_u32_e32 v9, vcc, v5, v2
	v_addc_co_u32_e32 v10, vcc, 0, v3, vcc
	v_mad_u64_u32 v[2:3], s[0:1], v8, s18, 0
	v_mad_u64_u32 v[4:5], s[0:1], v8, s15, 0
	v_add_co_u32_e32 v2, vcc, v9, v2
	v_addc_co_u32_e32 v2, vcc, v10, v3, vcc
	v_addc_co_u32_e32 v3, vcc, 0, v5, vcc
	v_add_co_u32_e32 v4, vcc, v2, v4
	v_addc_co_u32_e32 v5, vcc, 0, v3, vcc
	v_mul_lo_u32 v9, s17, v4
	v_mul_lo_u32 v10, s16, v5
	v_mad_u64_u32 v[2:3], s[0:1], s16, v4, 0
	v_add3_u32 v3, v3, v10, v9
	v_sub_u32_e32 v9, v8, v3
	v_mov_b32_e32 v10, s17
	v_sub_co_u32_e32 v2, vcc, v6, v2
	v_subb_co_u32_e64 v6, s[0:1], v9, v10, vcc
	v_subrev_co_u32_e64 v9, s[0:1], s16, v2
	v_subbrev_co_u32_e64 v6, s[0:1], 0, v6, s[0:1]
	v_cmp_le_u32_e64 s[0:1], s17, v6
	v_cndmask_b32_e64 v10, 0, -1, s[0:1]
	v_cmp_le_u32_e64 s[0:1], s16, v9
	v_cndmask_b32_e64 v9, 0, -1, s[0:1]
	v_cmp_eq_u32_e64 s[0:1], s17, v6
	v_cndmask_b32_e64 v6, v10, v9, s[0:1]
	v_add_co_u32_e64 v9, s[0:1], 2, v4
	v_subb_co_u32_e32 v3, vcc, v8, v3, vcc
	v_addc_co_u32_e64 v10, s[0:1], 0, v5, s[0:1]
	v_cmp_le_u32_e32 vcc, s17, v3
	v_add_co_u32_e64 v11, s[0:1], 1, v4
	v_cndmask_b32_e64 v8, 0, -1, vcc
	v_cmp_le_u32_e32 vcc, s16, v2
	v_addc_co_u32_e64 v12, s[0:1], 0, v5, s[0:1]
	v_cndmask_b32_e64 v2, 0, -1, vcc
	v_cmp_eq_u32_e32 vcc, s17, v3
	v_cmp_ne_u32_e64 s[0:1], 0, v6
	v_cndmask_b32_e32 v2, v8, v2, vcc
	v_cndmask_b32_e64 v6, v12, v10, s[0:1]
	v_cmp_ne_u32_e32 vcc, 0, v2
	v_cndmask_b32_e64 v3, v11, v9, s[0:1]
	v_cndmask_b32_e32 v2, v5, v6, vcc
	v_cndmask_b32_e32 v3, v4, v3, vcc
	v_xor_b32_e32 v4, s14, v7
	v_xor_b32_e32 v5, v2, v4
	;; [unrolled: 1-line block ×3, first 2 shown]
	v_sub_co_u32_e32 v2, vcc, v2, v4
	v_subb_co_u32_e32 v3, vcc, v5, v4, vcc
.LBB7_3:
	s_andn2_saveexec_b64 s[0:1], s[12:13]
	s_cbranch_execz .LBB7_5
; %bb.4:
	v_cvt_f32_u32_e32 v2, s10
	s_sub_i32 s12, 0, s10
	v_rcp_iflag_f32_e32 v2, v2
	v_mul_f32_e32 v2, 0x4f7ffffe, v2
	v_cvt_u32_f32_e32 v2, v2
	v_mul_lo_u32 v3, s12, v2
	v_mul_hi_u32 v3, v2, v3
	v_add_u32_e32 v2, v2, v3
	v_mul_hi_u32 v2, v0, v2
	v_mul_lo_u32 v3, v2, s10
	v_add_u32_e32 v4, 1, v2
	v_sub_u32_e32 v3, v0, v3
	v_subrev_u32_e32 v5, s10, v3
	v_cmp_le_u32_e32 vcc, s10, v3
	v_cndmask_b32_e32 v3, v3, v5, vcc
	v_cndmask_b32_e32 v2, v2, v4, vcc
	v_add_u32_e32 v4, 1, v2
	v_cmp_le_u32_e32 vcc, s10, v3
	v_cndmask_b32_e32 v2, v2, v4, vcc
	v_mov_b32_e32 v3, 0
.LBB7_5:
	s_or_b64 exec, exec, s[0:1]
	v_or_b32_e32 v5, s3, v3
	v_mov_b32_e32 v4, 0
	v_cmp_ne_u64_e32 vcc, 0, v[4:5]
                                        ; implicit-def: $vgpr4_vgpr5
	s_and_saveexec_b64 s[0:1], vcc
	s_xor_b64 s[12:13], exec, s[0:1]
	s_cbranch_execz .LBB7_7
; %bb.6:
	s_ashr_i32 s0, s3, 31
	s_add_u32 s14, s2, s0
	s_mov_b32 s1, s0
	s_addc_u32 s15, s3, s0
	s_xor_b64 s[14:15], s[14:15], s[0:1]
	v_cvt_f32_u32_e32 v4, s14
	v_cvt_f32_u32_e32 v5, s15
	s_sub_u32 s3, 0, s14
	s_subb_u32 s16, 0, s15
	v_ashrrev_i32_e32 v6, 31, v3
	v_madmk_f32 v4, v5, 0x4f800000, v4
	v_rcp_f32_e32 v4, v4
	v_mul_f32_e32 v4, 0x5f7ffffc, v4
	v_mul_f32_e32 v5, 0x2f800000, v4
	v_trunc_f32_e32 v5, v5
	v_madmk_f32 v4, v5, 0xcf800000, v4
	v_cvt_u32_f32_e32 v5, v5
	v_cvt_u32_f32_e32 v4, v4
	v_readfirstlane_b32 s17, v5
	v_readfirstlane_b32 s0, v4
	s_mul_i32 s1, s3, s17
	s_mul_hi_u32 s19, s3, s0
	s_mul_i32 s18, s16, s0
	s_add_i32 s1, s19, s1
	s_add_i32 s1, s1, s18
	s_mul_i32 s20, s3, s0
	s_mul_i32 s19, s0, s1
	s_mul_hi_u32 s21, s0, s20
	s_mul_hi_u32 s18, s0, s1
	s_add_u32 s19, s21, s19
	s_addc_u32 s18, 0, s18
	s_mul_hi_u32 s22, s17, s20
	s_mul_i32 s20, s17, s20
	s_add_u32 s19, s19, s20
	s_mul_hi_u32 s21, s17, s1
	s_addc_u32 s18, s18, s22
	s_addc_u32 s19, s21, 0
	s_mul_i32 s1, s17, s1
	s_add_u32 s1, s18, s1
	s_addc_u32 s18, 0, s19
	s_add_u32 s19, s0, s1
	s_cselect_b64 s[0:1], -1, 0
	s_cmp_lg_u64 s[0:1], 0
	s_addc_u32 s17, s17, s18
	s_mul_i32 s0, s3, s17
	s_mul_hi_u32 s1, s3, s19
	s_add_i32 s0, s1, s0
	s_mul_i32 s16, s16, s19
	s_add_i32 s0, s0, s16
	s_mul_i32 s3, s3, s19
	s_mul_hi_u32 s16, s17, s3
	s_mul_i32 s18, s17, s3
	s_mul_i32 s21, s19, s0
	s_mul_hi_u32 s3, s19, s3
	s_mul_hi_u32 s20, s19, s0
	s_add_u32 s3, s3, s21
	s_addc_u32 s20, 0, s20
	s_add_u32 s3, s3, s18
	s_mul_hi_u32 s1, s17, s0
	s_addc_u32 s3, s20, s16
	s_addc_u32 s1, s1, 0
	s_mul_i32 s0, s17, s0
	s_add_u32 s0, s3, s0
	s_addc_u32 s3, 0, s1
	s_add_u32 s16, s19, s0
	s_cselect_b64 s[0:1], -1, 0
	s_cmp_lg_u64 s[0:1], 0
	v_add_co_u32_e32 v4, vcc, v2, v6
	s_addc_u32 s3, s17, s3
	v_xor_b32_e32 v10, v4, v6
	v_mad_u64_u32 v[4:5], s[0:1], v10, s3, 0
	v_mul_hi_u32 v9, v10, s16
	v_addc_co_u32_e32 v8, vcc, v3, v6, vcc
	v_xor_b32_e32 v11, v8, v6
	v_add_co_u32_e32 v12, vcc, v9, v4
	v_addc_co_u32_e32 v13, vcc, 0, v5, vcc
	v_mad_u64_u32 v[4:5], s[0:1], v11, s16, 0
	v_mad_u64_u32 v[8:9], s[0:1], v11, s3, 0
	v_add_co_u32_e32 v4, vcc, v12, v4
	v_addc_co_u32_e32 v4, vcc, v13, v5, vcc
	v_addc_co_u32_e32 v5, vcc, 0, v9, vcc
	v_add_co_u32_e32 v4, vcc, v4, v8
	v_addc_co_u32_e32 v5, vcc, 0, v5, vcc
	v_mul_lo_u32 v8, s15, v4
	v_mul_lo_u32 v9, s14, v5
	v_mad_u64_u32 v[4:5], s[0:1], s14, v4, 0
	v_add3_u32 v5, v5, v9, v8
	v_sub_u32_e32 v8, v11, v5
	v_mov_b32_e32 v9, s15
	v_sub_co_u32_e32 v4, vcc, v10, v4
	v_subb_co_u32_e64 v8, s[0:1], v8, v9, vcc
	v_subrev_co_u32_e64 v9, s[0:1], s14, v4
	v_subbrev_co_u32_e64 v8, s[0:1], 0, v8, s[0:1]
	v_cmp_le_u32_e64 s[0:1], s15, v8
	v_subb_co_u32_e32 v5, vcc, v11, v5, vcc
	v_cndmask_b32_e64 v10, 0, -1, s[0:1]
	v_cmp_le_u32_e64 s[0:1], s14, v9
	v_cmp_le_u32_e32 vcc, s15, v5
	v_cndmask_b32_e64 v12, 0, -1, s[0:1]
	v_cmp_eq_u32_e64 s[0:1], s15, v8
	v_cndmask_b32_e64 v11, 0, -1, vcc
	v_cmp_le_u32_e32 vcc, s14, v4
	v_cndmask_b32_e64 v8, v10, v12, s[0:1]
	v_cndmask_b32_e64 v12, 0, -1, vcc
	v_cmp_eq_u32_e32 vcc, s15, v5
	v_subrev_co_u32_e64 v10, s[0:1], s14, v9
	v_cndmask_b32_e32 v5, v11, v12, vcc
	v_cmp_ne_u32_e32 vcc, 0, v8
	v_cndmask_b32_e32 v8, v9, v10, vcc
	v_cmp_ne_u32_e32 vcc, 0, v5
	v_cndmask_b32_e32 v4, v4, v8, vcc
	v_xor_b32_e32 v4, v4, v6
	v_sub_co_u32_e32 v4, vcc, v4, v6
.LBB7_7:
	s_andn2_saveexec_b64 s[0:1], s[12:13]
	s_cbranch_execz .LBB7_9
; %bb.8:
	v_cvt_f32_u32_e32 v4, s2
	s_sub_i32 s3, 0, s2
	v_rcp_iflag_f32_e32 v4, v4
	v_mul_f32_e32 v4, 0x4f7ffffe, v4
	v_cvt_u32_f32_e32 v4, v4
	v_mul_lo_u32 v5, s3, v4
	v_mul_hi_u32 v5, v4, v5
	v_add_u32_e32 v4, v4, v5
	v_mul_hi_u32 v4, v2, v4
	v_mul_lo_u32 v4, v4, s2
	v_sub_u32_e32 v4, v2, v4
	v_subrev_u32_e32 v5, s2, v4
	v_cmp_le_u32_e32 vcc, s2, v4
	v_cndmask_b32_e32 v4, v4, v5, vcc
	v_subrev_u32_e32 v5, s2, v4
	v_cmp_le_u32_e32 vcc, s2, v4
	v_cndmask_b32_e32 v4, v4, v5, vcc
.LBB7_9:
	s_or_b64 exec, exec, s[0:1]
	v_or_b32_e32 v6, s9, v1
	v_mov_b32_e32 v5, 0
	v_cmp_ne_u64_e32 vcc, 0, v[5:6]
                                        ; implicit-def: $vgpr5_vgpr6
	s_and_saveexec_b64 s[0:1], vcc
	s_xor_b64 s[2:3], exec, s[0:1]
	s_cbranch_execz .LBB7_11
; %bb.10:
	s_ashr_i32 s12, s9, 31
	s_add_u32 s0, s6, s12
	s_mov_b32 s13, s12
	s_addc_u32 s1, s9, s12
	s_xor_b64 s[14:15], s[0:1], s[12:13]
	v_cvt_f32_u32_e32 v5, s14
	v_cvt_f32_u32_e32 v6, s15
	s_sub_u32 s9, 0, s14
	s_subb_u32 s13, 0, s15
	v_madmk_f32 v5, v6, 0x4f800000, v5
	v_rcp_f32_e32 v5, v5
	v_mul_f32_e32 v5, 0x5f7ffffc, v5
	v_mul_f32_e32 v6, 0x2f800000, v5
	v_trunc_f32_e32 v6, v6
	v_madmk_f32 v5, v6, 0xcf800000, v5
	v_cvt_u32_f32_e32 v6, v6
	v_cvt_u32_f32_e32 v5, v5
	v_readfirstlane_b32 s16, v6
	v_readfirstlane_b32 s0, v5
	s_mul_i32 s1, s9, s16
	s_mul_hi_u32 s18, s9, s0
	s_mul_i32 s17, s13, s0
	s_add_i32 s1, s18, s1
	s_add_i32 s1, s1, s17
	s_mul_i32 s19, s9, s0
	s_mul_i32 s18, s0, s1
	s_mul_hi_u32 s20, s0, s19
	s_mul_hi_u32 s17, s0, s1
	s_add_u32 s18, s20, s18
	s_addc_u32 s17, 0, s17
	s_mul_hi_u32 s21, s16, s19
	s_mul_i32 s19, s16, s19
	s_add_u32 s18, s18, s19
	s_mul_hi_u32 s20, s16, s1
	s_addc_u32 s17, s17, s21
	s_addc_u32 s18, s20, 0
	s_mul_i32 s1, s16, s1
	s_add_u32 s1, s17, s1
	s_addc_u32 s17, 0, s18
	s_add_u32 s18, s0, s1
	s_cselect_b64 s[0:1], -1, 0
	s_cmp_lg_u64 s[0:1], 0
	s_addc_u32 s16, s16, s17
	s_mul_i32 s0, s9, s16
	s_mul_hi_u32 s1, s9, s18
	s_add_i32 s0, s1, s0
	s_mul_i32 s13, s13, s18
	s_add_i32 s0, s0, s13
	s_mul_i32 s9, s9, s18
	s_mul_hi_u32 s13, s16, s9
	s_mul_i32 s17, s16, s9
	s_mul_i32 s20, s18, s0
	s_mul_hi_u32 s9, s18, s9
	s_mul_hi_u32 s19, s18, s0
	s_add_u32 s9, s9, s20
	s_addc_u32 s19, 0, s19
	s_add_u32 s9, s9, s17
	s_mul_hi_u32 s1, s16, s0
	s_addc_u32 s9, s19, s13
	s_addc_u32 s1, s1, 0
	s_mul_i32 s0, s16, s0
	s_add_u32 s0, s9, s0
	s_addc_u32 s9, 0, s1
	s_add_u32 s13, s18, s0
	s_cselect_b64 s[0:1], -1, 0
	s_cmp_lg_u64 s[0:1], 0
	v_add_co_u32_e32 v5, vcc, v0, v7
	s_addc_u32 s9, s16, s9
	v_xor_b32_e32 v10, v5, v7
	v_mad_u64_u32 v[5:6], s[0:1], v10, s9, 0
	v_mul_hi_u32 v9, v10, s13
	v_addc_co_u32_e32 v8, vcc, v1, v7, vcc
	v_xor_b32_e32 v11, v8, v7
	v_add_co_u32_e32 v12, vcc, v9, v5
	v_addc_co_u32_e32 v13, vcc, 0, v6, vcc
	v_mad_u64_u32 v[5:6], s[0:1], v11, s13, 0
	v_mad_u64_u32 v[8:9], s[0:1], v11, s9, 0
	v_add_co_u32_e32 v5, vcc, v12, v5
	v_addc_co_u32_e32 v5, vcc, v13, v6, vcc
	v_addc_co_u32_e32 v6, vcc, 0, v9, vcc
	v_add_co_u32_e32 v8, vcc, v5, v8
	v_addc_co_u32_e32 v5, vcc, 0, v6, vcc
	v_mul_lo_u32 v9, s15, v8
	v_mul_lo_u32 v12, s14, v5
	v_mad_u64_u32 v[5:6], s[0:1], s14, v8, 0
	v_add3_u32 v6, v6, v12, v9
	v_sub_u32_e32 v9, v11, v6
	v_mov_b32_e32 v12, s15
	v_sub_co_u32_e32 v5, vcc, v10, v5
	v_subb_co_u32_e64 v9, s[0:1], v9, v12, vcc
	v_subrev_co_u32_e64 v10, s[0:1], s14, v5
	v_subbrev_co_u32_e64 v9, s[0:1], 0, v9, s[0:1]
	v_cmp_le_u32_e64 s[0:1], s15, v9
	v_subb_co_u32_e32 v6, vcc, v11, v6, vcc
	v_cndmask_b32_e64 v12, 0, -1, s[0:1]
	v_cmp_le_u32_e64 s[0:1], s14, v10
	v_cmp_le_u32_e32 vcc, s15, v6
	v_cndmask_b32_e64 v10, 0, -1, s[0:1]
	v_cmp_eq_u32_e64 s[0:1], s15, v9
	v_cndmask_b32_e64 v11, 0, -1, vcc
	v_cmp_le_u32_e32 vcc, s14, v5
	v_cndmask_b32_e64 v9, v12, v10, s[0:1]
	v_cndmask_b32_e64 v5, 0, -1, vcc
	v_cmp_eq_u32_e32 vcc, s15, v6
	v_add_co_u32_e64 v10, s[0:1], 2, v8
	v_add_co_u32_e64 v12, s[0:1], 1, v8
	v_cndmask_b32_e32 v5, v11, v5, vcc
	v_cmp_ne_u32_e32 vcc, 0, v9
	v_cndmask_b32_e32 v6, v12, v10, vcc
	v_cmp_ne_u32_e32 vcc, 0, v5
	v_cndmask_b32_e32 v5, v8, v6, vcc
	v_xor_b32_e32 v6, s12, v7
	v_xor_b32_e32 v5, v5, v6
	v_sub_co_u32_e32 v5, vcc, v5, v6
.LBB7_11:
	s_andn2_saveexec_b64 s[0:1], s[2:3]
	s_cbranch_execz .LBB7_13
; %bb.12:
	v_cvt_f32_u32_e32 v5, s6
	s_sub_i32 s2, 0, s6
	v_rcp_iflag_f32_e32 v5, v5
	v_mul_f32_e32 v5, 0x4f7ffffe, v5
	v_cvt_u32_f32_e32 v5, v5
	v_mul_lo_u32 v6, s2, v5
	v_mul_hi_u32 v6, v5, v6
	v_add_u32_e32 v5, v5, v6
	v_mul_hi_u32 v5, v0, v5
	v_mul_lo_u32 v6, v5, s6
	v_add_u32_e32 v7, 1, v5
	v_sub_u32_e32 v6, v0, v6
	v_subrev_u32_e32 v8, s6, v6
	v_cmp_le_u32_e32 vcc, s6, v6
	v_cndmask_b32_e32 v6, v6, v8, vcc
	v_cndmask_b32_e32 v5, v5, v7, vcc
	v_add_u32_e32 v7, 1, v5
	v_cmp_le_u32_e32 vcc, s6, v6
	v_cndmask_b32_e32 v5, v5, v7, vcc
.LBB7_13:
	s_or_b64 exec, exec, s[0:1]
	v_mul_lo_u32 v6, v3, s10
	v_mul_lo_u32 v7, v2, s11
	v_mad_u64_u32 v[2:3], s[0:1], v2, s10, 0
	s_load_dwordx4 s[0:3], s[4:5], 0xb0
	s_load_dword s6, s[4:5], 0xc0
	s_load_dwordx2 s[34:35], s[4:5], 0xa8
	v_add3_u32 v3, v3, v7, v6
	v_sub_co_u32_e32 v6, vcc, v0, v2
	s_waitcnt lgkmcnt(0)
	s_add_i32 s33, s6, s8
	s_load_dwordx16 s[8:23], s[4:5], 0x18
	v_subb_co_u32_e32 v7, vcc, v1, v3, vcc
	s_add_i32 s36, s3, s7
	s_sub_i32 s3, 0, s2
	s_sub_i32 s6, 0, s1
	s_max_i32 s25, s2, 0
	s_waitcnt lgkmcnt(0)
	s_max_i32 s9, s1, 0
	v_max_i32_e32 v0, s2, v6
	s_add_i32 s2, s2, s12
	v_max_i32_e32 v1, s1, v4
	s_add_i32 s1, s1, s10
	s_max_i32 s3, s3, 0
	s_max_i32 s24, s6, 0
	s_add_i32 s2, s2, -1
	s_add_i32 s1, s1, -1
	v_min_i32_e32 v0, s2, v0
	s_sub_i32 s2, s3, s25
	v_min_i32_e32 v1, s1, v1
	s_sub_i32 s1, s24, s9
	s_load_dwordx8 s[24:31], s[4:5], 0x88
	s_sub_i32 s6, 0, s0
	s_max_i32 s11, s0, 0
	v_add_u32_e32 v8, s1, v1
	v_max_i32_e32 v1, s0, v5
	s_add_i32 s0, s0, s8
	s_max_i32 s37, s6, 0
	s_add_i32 s0, s0, -1
	v_min_i32_e32 v1, s0, v1
	s_sub_i32 s0, s37, s11
	v_add_u32_e32 v9, s0, v1
	s_ashr_i32 s8, s33, 31
	s_load_dwordx2 s[0:1], s[4:5], 0x58
	v_add_u32_e32 v0, s2, v0
	s_waitcnt lgkmcnt(0)
	s_mul_i32 s2, s24, s8
	s_mul_hi_u32 s3, s24, s33
	s_add_i32 s2, s3, s2
	s_mul_i32 s3, s25, s33
	s_add_i32 s3, s2, s3
	s_mul_i32 s2, s24, s33
	s_lshl_b64 s[2:3], s[2:3], 2
	s_load_dwordx2 s[6:7], s[4:5], 0x0
	s_add_u32 s4, s0, s2
	s_addc_u32 s5, s1, s3
	s_ashr_i32 s9, s36, 31
	s_mul_i32 s0, s26, s9
	s_mul_hi_u32 s1, s26, s36
	v_ashrrev_i32_e32 v1, 31, v5
	s_add_i32 s0, s1, s0
	s_mul_i32 s1, s27, s36
	v_mul_lo_u32 v3, s29, v5
	v_mul_lo_u32 v10, s28, v1
	v_mad_u64_u32 v[1:2], s[2:3], s28, v5, 0
	s_add_i32 s1, s0, s1
	s_mul_i32 s0, s26, s36
	s_lshl_b64 s[0:1], s[0:1], 2
	s_add_u32 s2, s4, s0
	s_addc_u32 s0, s5, s1
	v_add3_u32 v2, v2, v10, v3
	v_ashrrev_i32_e32 v3, 31, v4
	v_mov_b32_e32 v5, s0
	v_mul_lo_u32 v10, s31, v4
	v_mul_lo_u32 v11, s30, v3
	v_mad_u64_u32 v[3:4], s[0:1], s30, v4, 0
	v_lshlrev_b64 v[1:2], 2, v[1:2]
	v_mul_lo_u32 v7, s34, v7
	v_add_co_u32_e32 v12, vcc, s2, v1
	v_add3_u32 v4, v4, v11, v10
	v_addc_co_u32_e32 v5, vcc, v5, v2, vcc
	v_lshlrev_b64 v[1:2], 2, v[3:4]
	v_mul_lo_u32 v10, s35, v6
	v_mad_u64_u32 v[3:4], s[0:1], s34, v6, 0
	v_add_co_u32_e32 v6, vcc, v12, v1
	v_add3_u32 v4, v4, v7, v10
	s_mul_i32 s0, s14, s8
	s_mul_hi_u32 s1, s14, s33
	v_addc_co_u32_e32 v5, vcc, v5, v2, vcc
	v_lshlrev_b64 v[1:2], 2, v[3:4]
	s_add_i32 s0, s1, s0
	s_mul_i32 s1, s15, s33
	s_add_i32 s1, s0, s1
	s_mul_i32 s0, s14, s33
	v_add_co_u32_e32 v1, vcc, v6, v1
	s_lshl_b64 s[0:1], s[0:1], 2
	v_addc_co_u32_e32 v2, vcc, v5, v2, vcc
	s_waitcnt lgkmcnt(0)
	s_add_u32 s4, s6, s0
	global_load_dword v4, v[1:2], off
	s_addc_u32 s5, s7, s1
	s_mul_i32 s0, s16, s9
	s_mul_hi_u32 s1, s16, s36
	v_ashrrev_i32_e32 v1, 31, v9
	s_add_i32 s0, s1, s0
	s_mul_i32 s1, s17, s36
	v_mul_lo_u32 v3, s18, v1
	v_mul_lo_u32 v5, s19, v9
	v_mad_u64_u32 v[1:2], s[2:3], s18, v9, 0
	s_add_i32 s1, s0, s1
	s_mul_i32 s0, s16, s36
	s_lshl_b64 s[0:1], s[0:1], 2
	s_add_u32 s2, s4, s0
	s_addc_u32 s0, s5, s1
	v_add3_u32 v2, v2, v3, v5
	v_ashrrev_i32_e32 v5, 31, v8
	v_mov_b32_e32 v3, s0
	v_mul_lo_u32 v7, s20, v5
	v_mul_lo_u32 v9, s21, v8
	v_mad_u64_u32 v[5:6], s[0:1], s20, v8, 0
	v_lshlrev_b64 v[1:2], 2, v[1:2]
	v_add_co_u32_e32 v8, vcc, s2, v1
	v_add3_u32 v6, v6, v7, v9
	v_addc_co_u32_e32 v3, vcc, v3, v2, vcc
	v_lshlrev_b64 v[1:2], 2, v[5:6]
	v_ashrrev_i32_e32 v5, 31, v0
	v_mul_lo_u32 v7, s22, v5
	v_mul_lo_u32 v9, s23, v0
	v_mad_u64_u32 v[5:6], s[0:1], s22, v0, 0
	v_add_co_u32_e32 v8, vcc, v8, v1
	v_add3_u32 v6, v6, v7, v9
	v_lshlrev_b64 v[0:1], 2, v[5:6]
	v_addc_co_u32_e32 v2, vcc, v3, v2, vcc
	v_add_co_u32_e32 v0, vcc, v8, v0
	v_addc_co_u32_e32 v1, vcc, v2, v1, vcc
	global_load_dword v3, v[0:1], off
	s_mov_b64 s[0:1], 0
.LBB7_14:                               ; =>This Inner Loop Header: Depth=1
	s_waitcnt vmcnt(0)
	v_add_f32_e32 v2, v3, v4
	global_atomic_cmpswap v2, v[0:1], v[2:3], off glc
	s_waitcnt vmcnt(0)
	v_cmp_eq_u32_e32 vcc, v2, v3
	s_or_b64 s[0:1], vcc, s[0:1]
	v_mov_b32_e32 v3, v2
	s_andn2_b64 exec, exec, s[0:1]
	s_cbranch_execnz .LBB7_14
.LBB7_15:
	s_endpgm
	.section	.rodata,"a",@progbits
	.p2align	6, 0x0
	.amdhsa_kernel _ZN2at6native12_GLOBAL__N_131replication_pad_backward_kernelIfEEvN5torch10headeronly6detail27GenericPackedTensorAccessorINS5_14TensorAccessorIN3c108ArrayRefIlEET_Lm4ENS4_16DefaultPtrTraitsElEENS_6detail16IndexBoundsCheckILm5ElEESB_Lm5ESC_lEENS6_INS7_ISA_KSB_Lm4ESC_lEESG_SI_Lm5ESC_lEEiiiii
		.amdhsa_group_segment_fixed_size 0
		.amdhsa_private_segment_fixed_size 0
		.amdhsa_kernarg_size 456
		.amdhsa_user_sgpr_count 6
		.amdhsa_user_sgpr_private_segment_buffer 1
		.amdhsa_user_sgpr_dispatch_ptr 0
		.amdhsa_user_sgpr_queue_ptr 0
		.amdhsa_user_sgpr_kernarg_segment_ptr 1
		.amdhsa_user_sgpr_dispatch_id 0
		.amdhsa_user_sgpr_flat_scratch_init 0
		.amdhsa_user_sgpr_private_segment_size 0
		.amdhsa_uses_dynamic_stack 0
		.amdhsa_system_sgpr_private_segment_wavefront_offset 0
		.amdhsa_system_sgpr_workgroup_id_x 1
		.amdhsa_system_sgpr_workgroup_id_y 1
		.amdhsa_system_sgpr_workgroup_id_z 1
		.amdhsa_system_sgpr_workgroup_info 0
		.amdhsa_system_vgpr_workitem_id 0
		.amdhsa_next_free_vgpr 14
		.amdhsa_next_free_sgpr 38
		.amdhsa_reserve_vcc 1
		.amdhsa_reserve_flat_scratch 0
		.amdhsa_float_round_mode_32 0
		.amdhsa_float_round_mode_16_64 0
		.amdhsa_float_denorm_mode_32 3
		.amdhsa_float_denorm_mode_16_64 3
		.amdhsa_dx10_clamp 1
		.amdhsa_ieee_mode 1
		.amdhsa_fp16_overflow 0
		.amdhsa_exception_fp_ieee_invalid_op 0
		.amdhsa_exception_fp_denorm_src 0
		.amdhsa_exception_fp_ieee_div_zero 0
		.amdhsa_exception_fp_ieee_overflow 0
		.amdhsa_exception_fp_ieee_underflow 0
		.amdhsa_exception_fp_ieee_inexact 0
		.amdhsa_exception_int_div_zero 0
	.end_amdhsa_kernel
	.section	.text._ZN2at6native12_GLOBAL__N_131replication_pad_backward_kernelIfEEvN5torch10headeronly6detail27GenericPackedTensorAccessorINS5_14TensorAccessorIN3c108ArrayRefIlEET_Lm4ENS4_16DefaultPtrTraitsElEENS_6detail16IndexBoundsCheckILm5ElEESB_Lm5ESC_lEENS6_INS7_ISA_KSB_Lm4ESC_lEESG_SI_Lm5ESC_lEEiiiii,"axG",@progbits,_ZN2at6native12_GLOBAL__N_131replication_pad_backward_kernelIfEEvN5torch10headeronly6detail27GenericPackedTensorAccessorINS5_14TensorAccessorIN3c108ArrayRefIlEET_Lm4ENS4_16DefaultPtrTraitsElEENS_6detail16IndexBoundsCheckILm5ElEESB_Lm5ESC_lEENS6_INS7_ISA_KSB_Lm4ESC_lEESG_SI_Lm5ESC_lEEiiiii,comdat
.Lfunc_end7:
	.size	_ZN2at6native12_GLOBAL__N_131replication_pad_backward_kernelIfEEvN5torch10headeronly6detail27GenericPackedTensorAccessorINS5_14TensorAccessorIN3c108ArrayRefIlEET_Lm4ENS4_16DefaultPtrTraitsElEENS_6detail16IndexBoundsCheckILm5ElEESB_Lm5ESC_lEENS6_INS7_ISA_KSB_Lm4ESC_lEESG_SI_Lm5ESC_lEEiiiii, .Lfunc_end7-_ZN2at6native12_GLOBAL__N_131replication_pad_backward_kernelIfEEvN5torch10headeronly6detail27GenericPackedTensorAccessorINS5_14TensorAccessorIN3c108ArrayRefIlEET_Lm4ENS4_16DefaultPtrTraitsElEENS_6detail16IndexBoundsCheckILm5ElEESB_Lm5ESC_lEENS6_INS7_ISA_KSB_Lm4ESC_lEESG_SI_Lm5ESC_lEEiiiii
                                        ; -- End function
	.set _ZN2at6native12_GLOBAL__N_131replication_pad_backward_kernelIfEEvN5torch10headeronly6detail27GenericPackedTensorAccessorINS5_14TensorAccessorIN3c108ArrayRefIlEET_Lm4ENS4_16DefaultPtrTraitsElEENS_6detail16IndexBoundsCheckILm5ElEESB_Lm5ESC_lEENS6_INS7_ISA_KSB_Lm4ESC_lEESG_SI_Lm5ESC_lEEiiiii.num_vgpr, 14
	.set _ZN2at6native12_GLOBAL__N_131replication_pad_backward_kernelIfEEvN5torch10headeronly6detail27GenericPackedTensorAccessorINS5_14TensorAccessorIN3c108ArrayRefIlEET_Lm4ENS4_16DefaultPtrTraitsElEENS_6detail16IndexBoundsCheckILm5ElEESB_Lm5ESC_lEENS6_INS7_ISA_KSB_Lm4ESC_lEESG_SI_Lm5ESC_lEEiiiii.num_agpr, 0
	.set _ZN2at6native12_GLOBAL__N_131replication_pad_backward_kernelIfEEvN5torch10headeronly6detail27GenericPackedTensorAccessorINS5_14TensorAccessorIN3c108ArrayRefIlEET_Lm4ENS4_16DefaultPtrTraitsElEENS_6detail16IndexBoundsCheckILm5ElEESB_Lm5ESC_lEENS6_INS7_ISA_KSB_Lm4ESC_lEESG_SI_Lm5ESC_lEEiiiii.numbered_sgpr, 38
	.set _ZN2at6native12_GLOBAL__N_131replication_pad_backward_kernelIfEEvN5torch10headeronly6detail27GenericPackedTensorAccessorINS5_14TensorAccessorIN3c108ArrayRefIlEET_Lm4ENS4_16DefaultPtrTraitsElEENS_6detail16IndexBoundsCheckILm5ElEESB_Lm5ESC_lEENS6_INS7_ISA_KSB_Lm4ESC_lEESG_SI_Lm5ESC_lEEiiiii.num_named_barrier, 0
	.set _ZN2at6native12_GLOBAL__N_131replication_pad_backward_kernelIfEEvN5torch10headeronly6detail27GenericPackedTensorAccessorINS5_14TensorAccessorIN3c108ArrayRefIlEET_Lm4ENS4_16DefaultPtrTraitsElEENS_6detail16IndexBoundsCheckILm5ElEESB_Lm5ESC_lEENS6_INS7_ISA_KSB_Lm4ESC_lEESG_SI_Lm5ESC_lEEiiiii.private_seg_size, 0
	.set _ZN2at6native12_GLOBAL__N_131replication_pad_backward_kernelIfEEvN5torch10headeronly6detail27GenericPackedTensorAccessorINS5_14TensorAccessorIN3c108ArrayRefIlEET_Lm4ENS4_16DefaultPtrTraitsElEENS_6detail16IndexBoundsCheckILm5ElEESB_Lm5ESC_lEENS6_INS7_ISA_KSB_Lm4ESC_lEESG_SI_Lm5ESC_lEEiiiii.uses_vcc, 1
	.set _ZN2at6native12_GLOBAL__N_131replication_pad_backward_kernelIfEEvN5torch10headeronly6detail27GenericPackedTensorAccessorINS5_14TensorAccessorIN3c108ArrayRefIlEET_Lm4ENS4_16DefaultPtrTraitsElEENS_6detail16IndexBoundsCheckILm5ElEESB_Lm5ESC_lEENS6_INS7_ISA_KSB_Lm4ESC_lEESG_SI_Lm5ESC_lEEiiiii.uses_flat_scratch, 0
	.set _ZN2at6native12_GLOBAL__N_131replication_pad_backward_kernelIfEEvN5torch10headeronly6detail27GenericPackedTensorAccessorINS5_14TensorAccessorIN3c108ArrayRefIlEET_Lm4ENS4_16DefaultPtrTraitsElEENS_6detail16IndexBoundsCheckILm5ElEESB_Lm5ESC_lEENS6_INS7_ISA_KSB_Lm4ESC_lEESG_SI_Lm5ESC_lEEiiiii.has_dyn_sized_stack, 0
	.set _ZN2at6native12_GLOBAL__N_131replication_pad_backward_kernelIfEEvN5torch10headeronly6detail27GenericPackedTensorAccessorINS5_14TensorAccessorIN3c108ArrayRefIlEET_Lm4ENS4_16DefaultPtrTraitsElEENS_6detail16IndexBoundsCheckILm5ElEESB_Lm5ESC_lEENS6_INS7_ISA_KSB_Lm4ESC_lEESG_SI_Lm5ESC_lEEiiiii.has_recursion, 0
	.set _ZN2at6native12_GLOBAL__N_131replication_pad_backward_kernelIfEEvN5torch10headeronly6detail27GenericPackedTensorAccessorINS5_14TensorAccessorIN3c108ArrayRefIlEET_Lm4ENS4_16DefaultPtrTraitsElEENS_6detail16IndexBoundsCheckILm5ElEESB_Lm5ESC_lEENS6_INS7_ISA_KSB_Lm4ESC_lEESG_SI_Lm5ESC_lEEiiiii.has_indirect_call, 0
	.section	.AMDGPU.csdata,"",@progbits
; Kernel info:
; codeLenInByte = 2992
; TotalNumSgprs: 42
; NumVgprs: 14
; ScratchSize: 0
; MemoryBound: 0
; FloatMode: 240
; IeeeMode: 1
; LDSByteSize: 0 bytes/workgroup (compile time only)
; SGPRBlocks: 5
; VGPRBlocks: 3
; NumSGPRsForWavesPerEU: 42
; NumVGPRsForWavesPerEU: 14
; Occupancy: 10
; WaveLimiterHint : 1
; COMPUTE_PGM_RSRC2:SCRATCH_EN: 0
; COMPUTE_PGM_RSRC2:USER_SGPR: 6
; COMPUTE_PGM_RSRC2:TRAP_HANDLER: 0
; COMPUTE_PGM_RSRC2:TGID_X_EN: 1
; COMPUTE_PGM_RSRC2:TGID_Y_EN: 1
; COMPUTE_PGM_RSRC2:TGID_Z_EN: 1
; COMPUTE_PGM_RSRC2:TIDIG_COMP_CNT: 0
	.section	.text._ZN2at6native12_GLOBAL__N_131replication_pad_backward_kernelIN3c107complexIdEEEEvN5torch10headeronly6detail27GenericPackedTensorAccessorINS8_14TensorAccessorINS3_8ArrayRefIlEET_Lm4ENS7_16DefaultPtrTraitsElEENS_6detail16IndexBoundsCheckILm5ElEESD_Lm5ESE_lEENS9_INSA_ISC_KSD_Lm4ESE_lEESI_SK_Lm5ESE_lEEiiiii,"axG",@progbits,_ZN2at6native12_GLOBAL__N_131replication_pad_backward_kernelIN3c107complexIdEEEEvN5torch10headeronly6detail27GenericPackedTensorAccessorINS8_14TensorAccessorINS3_8ArrayRefIlEET_Lm4ENS7_16DefaultPtrTraitsElEENS_6detail16IndexBoundsCheckILm5ElEESD_Lm5ESE_lEENS9_INSA_ISC_KSD_Lm4ESE_lEESI_SK_Lm5ESE_lEEiiiii,comdat
	.globl	_ZN2at6native12_GLOBAL__N_131replication_pad_backward_kernelIN3c107complexIdEEEEvN5torch10headeronly6detail27GenericPackedTensorAccessorINS8_14TensorAccessorINS3_8ArrayRefIlEET_Lm4ENS7_16DefaultPtrTraitsElEENS_6detail16IndexBoundsCheckILm5ElEESD_Lm5ESE_lEENS9_INSA_ISC_KSD_Lm4ESE_lEESI_SK_Lm5ESE_lEEiiiii ; -- Begin function _ZN2at6native12_GLOBAL__N_131replication_pad_backward_kernelIN3c107complexIdEEEEvN5torch10headeronly6detail27GenericPackedTensorAccessorINS8_14TensorAccessorINS3_8ArrayRefIlEET_Lm4ENS7_16DefaultPtrTraitsElEENS_6detail16IndexBoundsCheckILm5ElEESD_Lm5ESE_lEENS9_INSA_ISC_KSD_Lm4ESE_lEESI_SK_Lm5ESE_lEEiiiii
	.p2align	8
	.type	_ZN2at6native12_GLOBAL__N_131replication_pad_backward_kernelIN3c107complexIdEEEEvN5torch10headeronly6detail27GenericPackedTensorAccessorINS8_14TensorAccessorINS3_8ArrayRefIlEET_Lm4ENS7_16DefaultPtrTraitsElEENS_6detail16IndexBoundsCheckILm5ElEESD_Lm5ESE_lEENS9_INSA_ISC_KSD_Lm4ESE_lEESI_SK_Lm5ESE_lEEiiiii,@function
_ZN2at6native12_GLOBAL__N_131replication_pad_backward_kernelIN3c107complexIdEEEEvN5torch10headeronly6detail27GenericPackedTensorAccessorINS8_14TensorAccessorINS3_8ArrayRefIlEET_Lm4ENS7_16DefaultPtrTraitsElEENS_6detail16IndexBoundsCheckILm5ElEESD_Lm5ESE_lEENS9_INSA_ISC_KSD_Lm4ESE_lEESI_SK_Lm5ESE_lEEiiiii: ; @_ZN2at6native12_GLOBAL__N_131replication_pad_backward_kernelIN3c107complexIdEEEEvN5torch10headeronly6detail27GenericPackedTensorAccessorINS8_14TensorAccessorINS3_8ArrayRefIlEET_Lm4ENS7_16DefaultPtrTraitsElEENS_6detail16IndexBoundsCheckILm5ElEESD_Lm5ESE_lEENS9_INSA_ISC_KSD_Lm4ESE_lEESI_SK_Lm5ESE_lEEiiiii
; %bb.0:
	s_load_dword s9, s[4:5], 0xd4
	s_load_dwordx4 s[0:3], s[4:5], 0x70
	s_load_dwordx2 s[10:11], s[4:5], 0x80
	s_waitcnt lgkmcnt(0)
	s_and_b32 s9, s9, 0xffff
	s_mul_i32 s6, s6, s9
	v_add_u32_e32 v0, s6, v0
	s_mul_i32 s6, s10, s3
	s_mul_hi_u32 s9, s10, s2
	s_add_i32 s9, s9, s6
	s_mul_i32 s6, s11, s2
	s_add_i32 s9, s9, s6
	s_mul_i32 s6, s10, s2
	s_mul_i32 s1, s6, s1
	s_mul_hi_u32 s12, s6, s0
	s_add_i32 s1, s12, s1
	s_mul_i32 s12, s9, s0
	v_ashrrev_i32_e32 v1, 31, v0
	s_add_i32 s1, s1, s12
	s_mul_i32 s0, s6, s0
	v_cmp_gt_i64_e32 vcc, s[0:1], v[0:1]
	s_and_saveexec_b64 s[0:1], vcc
	s_cbranch_execz .LBB8_17
; %bb.1:
	v_or_b32_e32 v3, s11, v1
	v_mov_b32_e32 v2, 0
	v_cmp_ne_u64_e32 vcc, 0, v[2:3]
	v_ashrrev_i32_e32 v7, 31, v1
                                        ; implicit-def: $vgpr2_vgpr3
	s_and_saveexec_b64 s[0:1], vcc
	s_xor_b64 s[12:13], exec, s[0:1]
	s_cbranch_execz .LBB8_3
; %bb.2:
	s_ashr_i32 s14, s11, 31
	s_add_u32 s0, s10, s14
	s_mov_b32 s15, s14
	s_addc_u32 s1, s11, s14
	s_xor_b64 s[16:17], s[0:1], s[14:15]
	v_cvt_f32_u32_e32 v2, s16
	v_cvt_f32_u32_e32 v3, s17
	s_sub_u32 s15, 0, s16
	s_subb_u32 s18, 0, s17
	v_madmk_f32 v2, v3, 0x4f800000, v2
	v_rcp_f32_e32 v2, v2
	v_mul_f32_e32 v2, 0x5f7ffffc, v2
	v_mul_f32_e32 v3, 0x2f800000, v2
	v_trunc_f32_e32 v3, v3
	v_madmk_f32 v2, v3, 0xcf800000, v2
	v_cvt_u32_f32_e32 v3, v3
	v_cvt_u32_f32_e32 v2, v2
	v_readfirstlane_b32 s19, v3
	v_readfirstlane_b32 s0, v2
	s_mul_i32 s1, s15, s19
	s_mul_hi_u32 s21, s15, s0
	s_mul_i32 s20, s18, s0
	s_add_i32 s1, s21, s1
	s_add_i32 s1, s1, s20
	s_mul_i32 s22, s15, s0
	s_mul_i32 s21, s0, s1
	s_mul_hi_u32 s23, s0, s22
	s_mul_hi_u32 s20, s0, s1
	s_add_u32 s21, s23, s21
	s_addc_u32 s20, 0, s20
	s_mul_hi_u32 s24, s19, s22
	s_mul_i32 s22, s19, s22
	s_add_u32 s21, s21, s22
	s_mul_hi_u32 s23, s19, s1
	s_addc_u32 s20, s20, s24
	s_addc_u32 s21, s23, 0
	s_mul_i32 s1, s19, s1
	s_add_u32 s1, s20, s1
	s_addc_u32 s20, 0, s21
	s_add_u32 s21, s0, s1
	s_cselect_b64 s[0:1], -1, 0
	s_cmp_lg_u64 s[0:1], 0
	s_addc_u32 s19, s19, s20
	s_mul_i32 s0, s15, s19
	s_mul_hi_u32 s1, s15, s21
	s_add_i32 s0, s1, s0
	s_mul_i32 s18, s18, s21
	s_add_i32 s0, s0, s18
	s_mul_i32 s15, s15, s21
	s_mul_hi_u32 s18, s19, s15
	s_mul_i32 s20, s19, s15
	s_mul_i32 s23, s21, s0
	s_mul_hi_u32 s15, s21, s15
	s_mul_hi_u32 s22, s21, s0
	s_add_u32 s15, s15, s23
	s_addc_u32 s22, 0, s22
	s_add_u32 s15, s15, s20
	s_mul_hi_u32 s1, s19, s0
	s_addc_u32 s15, s22, s18
	s_addc_u32 s1, s1, 0
	s_mul_i32 s0, s19, s0
	s_add_u32 s0, s15, s0
	s_addc_u32 s15, 0, s1
	s_add_u32 s18, s21, s0
	s_cselect_b64 s[0:1], -1, 0
	s_cmp_lg_u64 s[0:1], 0
	v_add_co_u32_e32 v2, vcc, v0, v7
	s_addc_u32 s15, s19, s15
	v_xor_b32_e32 v6, v2, v7
	v_mad_u64_u32 v[2:3], s[0:1], v6, s15, 0
	v_mul_hi_u32 v5, v6, s18
	v_addc_co_u32_e32 v4, vcc, v1, v7, vcc
	v_xor_b32_e32 v8, v4, v7
	v_add_co_u32_e32 v9, vcc, v5, v2
	v_addc_co_u32_e32 v10, vcc, 0, v3, vcc
	v_mad_u64_u32 v[2:3], s[0:1], v8, s18, 0
	v_mad_u64_u32 v[4:5], s[0:1], v8, s15, 0
	v_add_co_u32_e32 v2, vcc, v9, v2
	v_addc_co_u32_e32 v2, vcc, v10, v3, vcc
	v_addc_co_u32_e32 v3, vcc, 0, v5, vcc
	v_add_co_u32_e32 v4, vcc, v2, v4
	v_addc_co_u32_e32 v5, vcc, 0, v3, vcc
	v_mul_lo_u32 v9, s17, v4
	v_mul_lo_u32 v10, s16, v5
	v_mad_u64_u32 v[2:3], s[0:1], s16, v4, 0
	v_add3_u32 v3, v3, v10, v9
	v_sub_u32_e32 v9, v8, v3
	v_mov_b32_e32 v10, s17
	v_sub_co_u32_e32 v2, vcc, v6, v2
	v_subb_co_u32_e64 v6, s[0:1], v9, v10, vcc
	v_subrev_co_u32_e64 v9, s[0:1], s16, v2
	v_subbrev_co_u32_e64 v6, s[0:1], 0, v6, s[0:1]
	v_cmp_le_u32_e64 s[0:1], s17, v6
	v_cndmask_b32_e64 v10, 0, -1, s[0:1]
	v_cmp_le_u32_e64 s[0:1], s16, v9
	v_cndmask_b32_e64 v9, 0, -1, s[0:1]
	v_cmp_eq_u32_e64 s[0:1], s17, v6
	v_cndmask_b32_e64 v6, v10, v9, s[0:1]
	v_add_co_u32_e64 v9, s[0:1], 2, v4
	v_subb_co_u32_e32 v3, vcc, v8, v3, vcc
	v_addc_co_u32_e64 v10, s[0:1], 0, v5, s[0:1]
	v_cmp_le_u32_e32 vcc, s17, v3
	v_add_co_u32_e64 v11, s[0:1], 1, v4
	v_cndmask_b32_e64 v8, 0, -1, vcc
	v_cmp_le_u32_e32 vcc, s16, v2
	v_addc_co_u32_e64 v12, s[0:1], 0, v5, s[0:1]
	v_cndmask_b32_e64 v2, 0, -1, vcc
	v_cmp_eq_u32_e32 vcc, s17, v3
	v_cmp_ne_u32_e64 s[0:1], 0, v6
	v_cndmask_b32_e32 v2, v8, v2, vcc
	v_cndmask_b32_e64 v6, v12, v10, s[0:1]
	v_cmp_ne_u32_e32 vcc, 0, v2
	v_cndmask_b32_e64 v3, v11, v9, s[0:1]
	v_cndmask_b32_e32 v2, v5, v6, vcc
	v_cndmask_b32_e32 v3, v4, v3, vcc
	v_xor_b32_e32 v4, s14, v7
	v_xor_b32_e32 v5, v2, v4
	;; [unrolled: 1-line block ×3, first 2 shown]
	v_sub_co_u32_e32 v2, vcc, v2, v4
	v_subb_co_u32_e32 v3, vcc, v5, v4, vcc
.LBB8_3:
	s_andn2_saveexec_b64 s[0:1], s[12:13]
	s_cbranch_execz .LBB8_5
; %bb.4:
	v_cvt_f32_u32_e32 v2, s10
	s_sub_i32 s12, 0, s10
	v_rcp_iflag_f32_e32 v2, v2
	v_mul_f32_e32 v2, 0x4f7ffffe, v2
	v_cvt_u32_f32_e32 v2, v2
	v_mul_lo_u32 v3, s12, v2
	v_mul_hi_u32 v3, v2, v3
	v_add_u32_e32 v2, v2, v3
	v_mul_hi_u32 v2, v0, v2
	v_mul_lo_u32 v3, v2, s10
	v_add_u32_e32 v4, 1, v2
	v_sub_u32_e32 v3, v0, v3
	v_subrev_u32_e32 v5, s10, v3
	v_cmp_le_u32_e32 vcc, s10, v3
	v_cndmask_b32_e32 v3, v3, v5, vcc
	v_cndmask_b32_e32 v2, v2, v4, vcc
	v_add_u32_e32 v4, 1, v2
	v_cmp_le_u32_e32 vcc, s10, v3
	v_cndmask_b32_e32 v2, v2, v4, vcc
	v_mov_b32_e32 v3, 0
.LBB8_5:
	s_or_b64 exec, exec, s[0:1]
	v_or_b32_e32 v5, s3, v3
	v_mov_b32_e32 v4, 0
	v_cmp_ne_u64_e32 vcc, 0, v[4:5]
                                        ; implicit-def: $vgpr4_vgpr5
	s_and_saveexec_b64 s[0:1], vcc
	s_xor_b64 s[12:13], exec, s[0:1]
	s_cbranch_execz .LBB8_7
; %bb.6:
	s_ashr_i32 s0, s3, 31
	s_add_u32 s14, s2, s0
	s_mov_b32 s1, s0
	s_addc_u32 s15, s3, s0
	s_xor_b64 s[14:15], s[14:15], s[0:1]
	v_cvt_f32_u32_e32 v4, s14
	v_cvt_f32_u32_e32 v5, s15
	s_sub_u32 s3, 0, s14
	s_subb_u32 s16, 0, s15
	v_ashrrev_i32_e32 v6, 31, v3
	v_madmk_f32 v4, v5, 0x4f800000, v4
	v_rcp_f32_e32 v4, v4
	v_mul_f32_e32 v4, 0x5f7ffffc, v4
	v_mul_f32_e32 v5, 0x2f800000, v4
	v_trunc_f32_e32 v5, v5
	v_madmk_f32 v4, v5, 0xcf800000, v4
	v_cvt_u32_f32_e32 v5, v5
	v_cvt_u32_f32_e32 v4, v4
	v_readfirstlane_b32 s17, v5
	v_readfirstlane_b32 s0, v4
	s_mul_i32 s1, s3, s17
	s_mul_hi_u32 s19, s3, s0
	s_mul_i32 s18, s16, s0
	s_add_i32 s1, s19, s1
	s_add_i32 s1, s1, s18
	s_mul_i32 s20, s3, s0
	s_mul_i32 s19, s0, s1
	s_mul_hi_u32 s21, s0, s20
	s_mul_hi_u32 s18, s0, s1
	s_add_u32 s19, s21, s19
	s_addc_u32 s18, 0, s18
	s_mul_hi_u32 s22, s17, s20
	s_mul_i32 s20, s17, s20
	s_add_u32 s19, s19, s20
	s_mul_hi_u32 s21, s17, s1
	s_addc_u32 s18, s18, s22
	s_addc_u32 s19, s21, 0
	s_mul_i32 s1, s17, s1
	s_add_u32 s1, s18, s1
	s_addc_u32 s18, 0, s19
	s_add_u32 s19, s0, s1
	s_cselect_b64 s[0:1], -1, 0
	s_cmp_lg_u64 s[0:1], 0
	s_addc_u32 s17, s17, s18
	s_mul_i32 s0, s3, s17
	s_mul_hi_u32 s1, s3, s19
	s_add_i32 s0, s1, s0
	s_mul_i32 s16, s16, s19
	s_add_i32 s0, s0, s16
	s_mul_i32 s3, s3, s19
	s_mul_hi_u32 s16, s17, s3
	s_mul_i32 s18, s17, s3
	s_mul_i32 s21, s19, s0
	s_mul_hi_u32 s3, s19, s3
	s_mul_hi_u32 s20, s19, s0
	s_add_u32 s3, s3, s21
	s_addc_u32 s20, 0, s20
	s_add_u32 s3, s3, s18
	s_mul_hi_u32 s1, s17, s0
	s_addc_u32 s3, s20, s16
	s_addc_u32 s1, s1, 0
	s_mul_i32 s0, s17, s0
	s_add_u32 s0, s3, s0
	s_addc_u32 s3, 0, s1
	s_add_u32 s16, s19, s0
	s_cselect_b64 s[0:1], -1, 0
	s_cmp_lg_u64 s[0:1], 0
	v_add_co_u32_e32 v4, vcc, v2, v6
	s_addc_u32 s3, s17, s3
	v_xor_b32_e32 v10, v4, v6
	v_mad_u64_u32 v[4:5], s[0:1], v10, s3, 0
	v_mul_hi_u32 v9, v10, s16
	v_addc_co_u32_e32 v8, vcc, v3, v6, vcc
	v_xor_b32_e32 v11, v8, v6
	v_add_co_u32_e32 v12, vcc, v9, v4
	v_addc_co_u32_e32 v13, vcc, 0, v5, vcc
	v_mad_u64_u32 v[4:5], s[0:1], v11, s16, 0
	v_mad_u64_u32 v[8:9], s[0:1], v11, s3, 0
	v_add_co_u32_e32 v4, vcc, v12, v4
	v_addc_co_u32_e32 v4, vcc, v13, v5, vcc
	v_addc_co_u32_e32 v5, vcc, 0, v9, vcc
	v_add_co_u32_e32 v4, vcc, v4, v8
	v_addc_co_u32_e32 v5, vcc, 0, v5, vcc
	v_mul_lo_u32 v8, s15, v4
	v_mul_lo_u32 v9, s14, v5
	v_mad_u64_u32 v[4:5], s[0:1], s14, v4, 0
	v_add3_u32 v5, v5, v9, v8
	v_sub_u32_e32 v8, v11, v5
	v_mov_b32_e32 v9, s15
	v_sub_co_u32_e32 v4, vcc, v10, v4
	v_subb_co_u32_e64 v8, s[0:1], v8, v9, vcc
	v_subrev_co_u32_e64 v9, s[0:1], s14, v4
	v_subbrev_co_u32_e64 v8, s[0:1], 0, v8, s[0:1]
	v_cmp_le_u32_e64 s[0:1], s15, v8
	v_subb_co_u32_e32 v5, vcc, v11, v5, vcc
	v_cndmask_b32_e64 v10, 0, -1, s[0:1]
	v_cmp_le_u32_e64 s[0:1], s14, v9
	v_cmp_le_u32_e32 vcc, s15, v5
	v_cndmask_b32_e64 v12, 0, -1, s[0:1]
	v_cmp_eq_u32_e64 s[0:1], s15, v8
	v_cndmask_b32_e64 v11, 0, -1, vcc
	v_cmp_le_u32_e32 vcc, s14, v4
	v_cndmask_b32_e64 v8, v10, v12, s[0:1]
	v_cndmask_b32_e64 v12, 0, -1, vcc
	v_cmp_eq_u32_e32 vcc, s15, v5
	v_subrev_co_u32_e64 v10, s[0:1], s14, v9
	v_cndmask_b32_e32 v5, v11, v12, vcc
	v_cmp_ne_u32_e32 vcc, 0, v8
	v_cndmask_b32_e32 v8, v9, v10, vcc
	v_cmp_ne_u32_e32 vcc, 0, v5
	v_cndmask_b32_e32 v4, v4, v8, vcc
	v_xor_b32_e32 v4, v4, v6
	v_sub_co_u32_e32 v4, vcc, v4, v6
.LBB8_7:
	s_andn2_saveexec_b64 s[0:1], s[12:13]
	s_cbranch_execz .LBB8_9
; %bb.8:
	v_cvt_f32_u32_e32 v4, s2
	s_sub_i32 s3, 0, s2
	v_rcp_iflag_f32_e32 v4, v4
	v_mul_f32_e32 v4, 0x4f7ffffe, v4
	v_cvt_u32_f32_e32 v4, v4
	v_mul_lo_u32 v5, s3, v4
	v_mul_hi_u32 v5, v4, v5
	v_add_u32_e32 v4, v4, v5
	v_mul_hi_u32 v4, v2, v4
	v_mul_lo_u32 v4, v4, s2
	v_sub_u32_e32 v4, v2, v4
	v_subrev_u32_e32 v5, s2, v4
	v_cmp_le_u32_e32 vcc, s2, v4
	v_cndmask_b32_e32 v4, v4, v5, vcc
	v_subrev_u32_e32 v5, s2, v4
	v_cmp_le_u32_e32 vcc, s2, v4
	v_cndmask_b32_e32 v4, v4, v5, vcc
.LBB8_9:
	s_or_b64 exec, exec, s[0:1]
	v_or_b32_e32 v6, s9, v1
	v_mov_b32_e32 v5, 0
	v_cmp_ne_u64_e32 vcc, 0, v[5:6]
                                        ; implicit-def: $vgpr5_vgpr6
	s_and_saveexec_b64 s[0:1], vcc
	s_xor_b64 s[2:3], exec, s[0:1]
	s_cbranch_execz .LBB8_11
; %bb.10:
	s_ashr_i32 s12, s9, 31
	s_add_u32 s0, s6, s12
	s_mov_b32 s13, s12
	s_addc_u32 s1, s9, s12
	s_xor_b64 s[14:15], s[0:1], s[12:13]
	v_cvt_f32_u32_e32 v5, s14
	v_cvt_f32_u32_e32 v6, s15
	s_sub_u32 s9, 0, s14
	s_subb_u32 s13, 0, s15
	v_madmk_f32 v5, v6, 0x4f800000, v5
	v_rcp_f32_e32 v5, v5
	v_mul_f32_e32 v5, 0x5f7ffffc, v5
	v_mul_f32_e32 v6, 0x2f800000, v5
	v_trunc_f32_e32 v6, v6
	v_madmk_f32 v5, v6, 0xcf800000, v5
	v_cvt_u32_f32_e32 v6, v6
	v_cvt_u32_f32_e32 v5, v5
	v_readfirstlane_b32 s16, v6
	v_readfirstlane_b32 s0, v5
	s_mul_i32 s1, s9, s16
	s_mul_hi_u32 s18, s9, s0
	s_mul_i32 s17, s13, s0
	s_add_i32 s1, s18, s1
	s_add_i32 s1, s1, s17
	s_mul_i32 s19, s9, s0
	s_mul_i32 s18, s0, s1
	s_mul_hi_u32 s20, s0, s19
	s_mul_hi_u32 s17, s0, s1
	s_add_u32 s18, s20, s18
	s_addc_u32 s17, 0, s17
	s_mul_hi_u32 s21, s16, s19
	s_mul_i32 s19, s16, s19
	s_add_u32 s18, s18, s19
	s_mul_hi_u32 s20, s16, s1
	s_addc_u32 s17, s17, s21
	s_addc_u32 s18, s20, 0
	s_mul_i32 s1, s16, s1
	s_add_u32 s1, s17, s1
	s_addc_u32 s17, 0, s18
	s_add_u32 s18, s0, s1
	s_cselect_b64 s[0:1], -1, 0
	s_cmp_lg_u64 s[0:1], 0
	s_addc_u32 s16, s16, s17
	s_mul_i32 s0, s9, s16
	s_mul_hi_u32 s1, s9, s18
	s_add_i32 s0, s1, s0
	s_mul_i32 s13, s13, s18
	s_add_i32 s0, s0, s13
	s_mul_i32 s9, s9, s18
	s_mul_hi_u32 s13, s16, s9
	s_mul_i32 s17, s16, s9
	s_mul_i32 s20, s18, s0
	s_mul_hi_u32 s9, s18, s9
	s_mul_hi_u32 s19, s18, s0
	s_add_u32 s9, s9, s20
	s_addc_u32 s19, 0, s19
	s_add_u32 s9, s9, s17
	s_mul_hi_u32 s1, s16, s0
	s_addc_u32 s9, s19, s13
	s_addc_u32 s1, s1, 0
	s_mul_i32 s0, s16, s0
	s_add_u32 s0, s9, s0
	s_addc_u32 s9, 0, s1
	s_add_u32 s13, s18, s0
	s_cselect_b64 s[0:1], -1, 0
	s_cmp_lg_u64 s[0:1], 0
	v_add_co_u32_e32 v5, vcc, v0, v7
	s_addc_u32 s9, s16, s9
	v_xor_b32_e32 v10, v5, v7
	v_mad_u64_u32 v[5:6], s[0:1], v10, s9, 0
	v_mul_hi_u32 v9, v10, s13
	v_addc_co_u32_e32 v8, vcc, v1, v7, vcc
	v_xor_b32_e32 v11, v8, v7
	v_add_co_u32_e32 v12, vcc, v9, v5
	v_addc_co_u32_e32 v13, vcc, 0, v6, vcc
	v_mad_u64_u32 v[5:6], s[0:1], v11, s13, 0
	v_mad_u64_u32 v[8:9], s[0:1], v11, s9, 0
	v_add_co_u32_e32 v5, vcc, v12, v5
	v_addc_co_u32_e32 v5, vcc, v13, v6, vcc
	v_addc_co_u32_e32 v6, vcc, 0, v9, vcc
	v_add_co_u32_e32 v8, vcc, v5, v8
	v_addc_co_u32_e32 v5, vcc, 0, v6, vcc
	v_mul_lo_u32 v9, s15, v8
	v_mul_lo_u32 v12, s14, v5
	v_mad_u64_u32 v[5:6], s[0:1], s14, v8, 0
	v_add3_u32 v6, v6, v12, v9
	v_sub_u32_e32 v9, v11, v6
	v_mov_b32_e32 v12, s15
	v_sub_co_u32_e32 v5, vcc, v10, v5
	v_subb_co_u32_e64 v9, s[0:1], v9, v12, vcc
	v_subrev_co_u32_e64 v10, s[0:1], s14, v5
	v_subbrev_co_u32_e64 v9, s[0:1], 0, v9, s[0:1]
	v_cmp_le_u32_e64 s[0:1], s15, v9
	v_subb_co_u32_e32 v6, vcc, v11, v6, vcc
	v_cndmask_b32_e64 v12, 0, -1, s[0:1]
	v_cmp_le_u32_e64 s[0:1], s14, v10
	v_cmp_le_u32_e32 vcc, s15, v6
	v_cndmask_b32_e64 v10, 0, -1, s[0:1]
	v_cmp_eq_u32_e64 s[0:1], s15, v9
	v_cndmask_b32_e64 v11, 0, -1, vcc
	v_cmp_le_u32_e32 vcc, s14, v5
	v_cndmask_b32_e64 v9, v12, v10, s[0:1]
	v_cndmask_b32_e64 v5, 0, -1, vcc
	v_cmp_eq_u32_e32 vcc, s15, v6
	v_add_co_u32_e64 v10, s[0:1], 2, v8
	v_add_co_u32_e64 v12, s[0:1], 1, v8
	v_cndmask_b32_e32 v5, v11, v5, vcc
	v_cmp_ne_u32_e32 vcc, 0, v9
	v_cndmask_b32_e32 v6, v12, v10, vcc
	v_cmp_ne_u32_e32 vcc, 0, v5
	v_cndmask_b32_e32 v5, v8, v6, vcc
	v_xor_b32_e32 v6, s12, v7
	v_xor_b32_e32 v5, v5, v6
	v_sub_co_u32_e32 v5, vcc, v5, v6
.LBB8_11:
	s_andn2_saveexec_b64 s[0:1], s[2:3]
	s_cbranch_execz .LBB8_13
; %bb.12:
	v_cvt_f32_u32_e32 v5, s6
	s_sub_i32 s2, 0, s6
	v_rcp_iflag_f32_e32 v5, v5
	v_mul_f32_e32 v5, 0x4f7ffffe, v5
	v_cvt_u32_f32_e32 v5, v5
	v_mul_lo_u32 v6, s2, v5
	v_mul_hi_u32 v6, v5, v6
	v_add_u32_e32 v5, v5, v6
	v_mul_hi_u32 v5, v0, v5
	v_mul_lo_u32 v6, v5, s6
	v_add_u32_e32 v7, 1, v5
	v_sub_u32_e32 v6, v0, v6
	v_subrev_u32_e32 v8, s6, v6
	v_cmp_le_u32_e32 vcc, s6, v6
	v_cndmask_b32_e32 v6, v6, v8, vcc
	v_cndmask_b32_e32 v5, v5, v7, vcc
	v_add_u32_e32 v7, 1, v5
	v_cmp_le_u32_e32 vcc, s6, v6
	v_cndmask_b32_e32 v5, v5, v7, vcc
.LBB8_13:
	s_or_b64 exec, exec, s[0:1]
	v_mul_lo_u32 v6, v3, s10
	v_mul_lo_u32 v7, v2, s11
	v_mad_u64_u32 v[2:3], s[0:1], v2, s10, 0
	s_load_dwordx4 s[0:3], s[4:5], 0xb0
	s_load_dword s6, s[4:5], 0xc0
	s_load_dwordx2 s[34:35], s[4:5], 0xa8
	v_add3_u32 v3, v3, v7, v6
	v_sub_co_u32_e32 v7, vcc, v0, v2
	s_waitcnt lgkmcnt(0)
	s_add_i32 s33, s6, s8
	s_load_dwordx16 s[8:23], s[4:5], 0x18
	s_add_i32 s36, s3, s7
	s_sub_i32 s3, 0, s2
	s_max_i32 s25, s2, 0
	v_max_i32_e32 v0, s2, v7
	s_waitcnt lgkmcnt(0)
	s_add_i32 s2, s2, s12
	s_max_i32 s3, s3, 0
	s_add_i32 s2, s2, -1
	v_min_i32_e32 v0, s2, v0
	s_sub_i32 s2, s3, s25
	s_sub_i32 s6, 0, s1
	s_max_i32 s9, s1, 0
	v_add_u32_e32 v6, s2, v0
	v_max_i32_e32 v0, s1, v4
	s_add_i32 s1, s1, s10
	s_max_i32 s24, s6, 0
	s_add_i32 s1, s1, -1
	v_min_i32_e32 v0, s1, v0
	s_sub_i32 s1, s24, s9
	s_load_dwordx8 s[24:31], s[4:5], 0x88
	s_sub_i32 s6, 0, s0
	s_max_i32 s11, s0, 0
	v_add_u32_e32 v9, s1, v0
	v_max_i32_e32 v0, s0, v5
	s_add_i32 s0, s0, s8
	s_max_i32 s37, s6, 0
	s_add_i32 s0, s0, -1
	v_min_i32_e32 v0, s0, v0
	s_sub_i32 s0, s37, s11
	v_add_u32_e32 v10, s0, v0
	s_ashr_i32 s8, s33, 31
	s_load_dwordx2 s[0:1], s[4:5], 0x58
	s_waitcnt lgkmcnt(0)
	s_mul_i32 s2, s24, s8
	s_mul_hi_u32 s3, s24, s33
	s_add_i32 s2, s3, s2
	s_mul_i32 s3, s25, s33
	s_add_i32 s3, s2, s3
	s_mul_i32 s2, s24, s33
	s_lshl_b64 s[2:3], s[2:3], 4
	s_load_dwordx2 s[6:7], s[4:5], 0x0
	s_add_u32 s4, s0, s2
	s_addc_u32 s5, s1, s3
	s_ashr_i32 s9, s36, 31
	s_mul_i32 s0, s26, s9
	s_mul_hi_u32 s1, s26, s36
	v_ashrrev_i32_e32 v0, 31, v5
	v_subb_co_u32_e32 v8, vcc, v1, v3, vcc
	s_add_i32 s0, s1, s0
	s_mul_i32 s1, s27, s36
	v_mul_lo_u32 v2, s29, v5
	v_mul_lo_u32 v3, s28, v0
	v_mad_u64_u32 v[0:1], s[2:3], s28, v5, 0
	s_add_i32 s1, s0, s1
	s_mul_i32 s0, s26, s36
	s_lshl_b64 s[0:1], s[0:1], 4
	s_add_u32 s2, s4, s0
	s_addc_u32 s0, s5, s1
	v_add3_u32 v1, v1, v3, v2
	v_ashrrev_i32_e32 v2, 31, v4
	v_mov_b32_e32 v5, s0
	v_mul_lo_u32 v11, s31, v4
	v_mul_lo_u32 v12, s30, v2
	v_mad_u64_u32 v[2:3], s[0:1], s30, v4, 0
	v_lshlrev_b64 v[0:1], 4, v[0:1]
	v_mul_lo_u32 v8, s34, v8
	v_add_co_u32_e32 v4, vcc, s2, v0
	v_add3_u32 v3, v3, v12, v11
	v_addc_co_u32_e32 v5, vcc, v5, v1, vcc
	v_lshlrev_b64 v[0:1], 4, v[2:3]
	v_mul_lo_u32 v11, s35, v7
	v_mad_u64_u32 v[2:3], s[0:1], s34, v7, 0
	s_mul_i32 s0, s14, s8
	s_mul_hi_u32 s1, s14, s33
	s_add_i32 s0, s1, s0
	s_mul_i32 s1, s15, s33
	v_add_co_u32_e32 v4, vcc, v4, v0
	v_add3_u32 v3, v3, v8, v11
	s_add_i32 s1, s0, s1
	s_mul_i32 s0, s14, s33
	v_addc_co_u32_e32 v5, vcc, v5, v1, vcc
	v_lshlrev_b64 v[0:1], 4, v[2:3]
	s_lshl_b64 s[0:1], s[0:1], 4
	s_waitcnt lgkmcnt(0)
	s_add_u32 s4, s6, s0
	v_add_co_u32_e32 v0, vcc, v4, v0
	s_addc_u32 s5, s7, s1
	s_mul_i32 s0, s16, s9
	s_mul_hi_u32 s1, s16, s36
	v_ashrrev_i32_e32 v4, 31, v10
	v_addc_co_u32_e32 v1, vcc, v5, v1, vcc
	s_add_i32 s0, s1, s0
	s_mul_i32 s1, s17, s36
	v_mul_lo_u32 v7, s18, v4
	v_mul_lo_u32 v8, s19, v10
	v_mad_u64_u32 v[4:5], s[2:3], s18, v10, 0
	s_add_i32 s1, s0, s1
	s_mul_i32 s0, s16, s36
	s_lshl_b64 s[0:1], s[0:1], 4
	s_add_u32 s2, s4, s0
	s_addc_u32 s0, s5, s1
	v_add3_u32 v5, v5, v7, v8
	v_ashrrev_i32_e32 v7, 31, v9
	v_mov_b32_e32 v10, s0
	v_mul_lo_u32 v11, s20, v7
	v_mul_lo_u32 v12, s21, v9
	v_mad_u64_u32 v[7:8], s[0:1], s20, v9, 0
	v_lshlrev_b64 v[4:5], 4, v[4:5]
	global_load_dwordx4 v[0:3], v[0:1], off
	v_add_co_u32_e32 v9, vcc, s2, v4
	v_add3_u32 v8, v8, v11, v12
	v_addc_co_u32_e32 v10, vcc, v10, v5, vcc
	v_lshlrev_b64 v[4:5], 4, v[7:8]
	v_ashrrev_i32_e32 v7, 31, v6
	v_mul_lo_u32 v8, s22, v7
	v_mul_lo_u32 v11, s23, v6
	v_mad_u64_u32 v[6:7], s[0:1], s22, v6, 0
	v_add_co_u32_e32 v9, vcc, v9, v4
	v_add3_u32 v7, v7, v8, v11
	v_addc_co_u32_e32 v10, vcc, v10, v5, vcc
	v_lshlrev_b64 v[4:5], 4, v[6:7]
	s_mov_b64 s[0:1], 0
	v_add_co_u32_e32 v8, vcc, v9, v4
	v_addc_co_u32_e32 v9, vcc, v10, v5, vcc
	global_load_dwordx2 v[6:7], v[8:9], off
.LBB8_14:                               ; =>This Inner Loop Header: Depth=1
	s_waitcnt vmcnt(0)
	v_add_f64 v[4:5], v[6:7], v[0:1]
	global_atomic_cmpswap_x2 v[4:5], v[8:9], v[4:7], off glc
	s_waitcnt vmcnt(0)
	v_cmp_eq_u64_e32 vcc, v[4:5], v[6:7]
	v_mov_b32_e32 v7, v5
	s_or_b64 s[0:1], vcc, s[0:1]
	v_mov_b32_e32 v6, v4
	s_andn2_b64 exec, exec, s[0:1]
	s_cbranch_execnz .LBB8_14
; %bb.15:
	s_or_b64 exec, exec, s[0:1]
	global_load_dwordx2 v[6:7], v[8:9], off offset:8
	s_mov_b64 s[0:1], 0
.LBB8_16:                               ; =>This Inner Loop Header: Depth=1
	s_waitcnt vmcnt(0)
	v_add_f64 v[4:5], v[6:7], v[2:3]
	global_atomic_cmpswap_x2 v[0:1], v[8:9], v[4:7], off offset:8 glc
	s_waitcnt vmcnt(0)
	v_cmp_eq_u64_e32 vcc, v[0:1], v[6:7]
	v_mov_b32_e32 v7, v1
	s_or_b64 s[0:1], vcc, s[0:1]
	v_mov_b32_e32 v6, v0
	s_andn2_b64 exec, exec, s[0:1]
	s_cbranch_execnz .LBB8_16
.LBB8_17:
	s_endpgm
	.section	.rodata,"a",@progbits
	.p2align	6, 0x0
	.amdhsa_kernel _ZN2at6native12_GLOBAL__N_131replication_pad_backward_kernelIN3c107complexIdEEEEvN5torch10headeronly6detail27GenericPackedTensorAccessorINS8_14TensorAccessorINS3_8ArrayRefIlEET_Lm4ENS7_16DefaultPtrTraitsElEENS_6detail16IndexBoundsCheckILm5ElEESD_Lm5ESE_lEENS9_INSA_ISC_KSD_Lm4ESE_lEESI_SK_Lm5ESE_lEEiiiii
		.amdhsa_group_segment_fixed_size 0
		.amdhsa_private_segment_fixed_size 0
		.amdhsa_kernarg_size 456
		.amdhsa_user_sgpr_count 6
		.amdhsa_user_sgpr_private_segment_buffer 1
		.amdhsa_user_sgpr_dispatch_ptr 0
		.amdhsa_user_sgpr_queue_ptr 0
		.amdhsa_user_sgpr_kernarg_segment_ptr 1
		.amdhsa_user_sgpr_dispatch_id 0
		.amdhsa_user_sgpr_flat_scratch_init 0
		.amdhsa_user_sgpr_private_segment_size 0
		.amdhsa_uses_dynamic_stack 0
		.amdhsa_system_sgpr_private_segment_wavefront_offset 0
		.amdhsa_system_sgpr_workgroup_id_x 1
		.amdhsa_system_sgpr_workgroup_id_y 1
		.amdhsa_system_sgpr_workgroup_id_z 1
		.amdhsa_system_sgpr_workgroup_info 0
		.amdhsa_system_vgpr_workitem_id 0
		.amdhsa_next_free_vgpr 14
		.amdhsa_next_free_sgpr 38
		.amdhsa_reserve_vcc 1
		.amdhsa_reserve_flat_scratch 0
		.amdhsa_float_round_mode_32 0
		.amdhsa_float_round_mode_16_64 0
		.amdhsa_float_denorm_mode_32 3
		.amdhsa_float_denorm_mode_16_64 3
		.amdhsa_dx10_clamp 1
		.amdhsa_ieee_mode 1
		.amdhsa_fp16_overflow 0
		.amdhsa_exception_fp_ieee_invalid_op 0
		.amdhsa_exception_fp_denorm_src 0
		.amdhsa_exception_fp_ieee_div_zero 0
		.amdhsa_exception_fp_ieee_overflow 0
		.amdhsa_exception_fp_ieee_underflow 0
		.amdhsa_exception_fp_ieee_inexact 0
		.amdhsa_exception_int_div_zero 0
	.end_amdhsa_kernel
	.section	.text._ZN2at6native12_GLOBAL__N_131replication_pad_backward_kernelIN3c107complexIdEEEEvN5torch10headeronly6detail27GenericPackedTensorAccessorINS8_14TensorAccessorINS3_8ArrayRefIlEET_Lm4ENS7_16DefaultPtrTraitsElEENS_6detail16IndexBoundsCheckILm5ElEESD_Lm5ESE_lEENS9_INSA_ISC_KSD_Lm4ESE_lEESI_SK_Lm5ESE_lEEiiiii,"axG",@progbits,_ZN2at6native12_GLOBAL__N_131replication_pad_backward_kernelIN3c107complexIdEEEEvN5torch10headeronly6detail27GenericPackedTensorAccessorINS8_14TensorAccessorINS3_8ArrayRefIlEET_Lm4ENS7_16DefaultPtrTraitsElEENS_6detail16IndexBoundsCheckILm5ElEESD_Lm5ESE_lEENS9_INSA_ISC_KSD_Lm4ESE_lEESI_SK_Lm5ESE_lEEiiiii,comdat
.Lfunc_end8:
	.size	_ZN2at6native12_GLOBAL__N_131replication_pad_backward_kernelIN3c107complexIdEEEEvN5torch10headeronly6detail27GenericPackedTensorAccessorINS8_14TensorAccessorINS3_8ArrayRefIlEET_Lm4ENS7_16DefaultPtrTraitsElEENS_6detail16IndexBoundsCheckILm5ElEESD_Lm5ESE_lEENS9_INSA_ISC_KSD_Lm4ESE_lEESI_SK_Lm5ESE_lEEiiiii, .Lfunc_end8-_ZN2at6native12_GLOBAL__N_131replication_pad_backward_kernelIN3c107complexIdEEEEvN5torch10headeronly6detail27GenericPackedTensorAccessorINS8_14TensorAccessorINS3_8ArrayRefIlEET_Lm4ENS7_16DefaultPtrTraitsElEENS_6detail16IndexBoundsCheckILm5ElEESD_Lm5ESE_lEENS9_INSA_ISC_KSD_Lm4ESE_lEESI_SK_Lm5ESE_lEEiiiii
                                        ; -- End function
	.set _ZN2at6native12_GLOBAL__N_131replication_pad_backward_kernelIN3c107complexIdEEEEvN5torch10headeronly6detail27GenericPackedTensorAccessorINS8_14TensorAccessorINS3_8ArrayRefIlEET_Lm4ENS7_16DefaultPtrTraitsElEENS_6detail16IndexBoundsCheckILm5ElEESD_Lm5ESE_lEENS9_INSA_ISC_KSD_Lm4ESE_lEESI_SK_Lm5ESE_lEEiiiii.num_vgpr, 14
	.set _ZN2at6native12_GLOBAL__N_131replication_pad_backward_kernelIN3c107complexIdEEEEvN5torch10headeronly6detail27GenericPackedTensorAccessorINS8_14TensorAccessorINS3_8ArrayRefIlEET_Lm4ENS7_16DefaultPtrTraitsElEENS_6detail16IndexBoundsCheckILm5ElEESD_Lm5ESE_lEENS9_INSA_ISC_KSD_Lm4ESE_lEESI_SK_Lm5ESE_lEEiiiii.num_agpr, 0
	.set _ZN2at6native12_GLOBAL__N_131replication_pad_backward_kernelIN3c107complexIdEEEEvN5torch10headeronly6detail27GenericPackedTensorAccessorINS8_14TensorAccessorINS3_8ArrayRefIlEET_Lm4ENS7_16DefaultPtrTraitsElEENS_6detail16IndexBoundsCheckILm5ElEESD_Lm5ESE_lEENS9_INSA_ISC_KSD_Lm4ESE_lEESI_SK_Lm5ESE_lEEiiiii.numbered_sgpr, 38
	.set _ZN2at6native12_GLOBAL__N_131replication_pad_backward_kernelIN3c107complexIdEEEEvN5torch10headeronly6detail27GenericPackedTensorAccessorINS8_14TensorAccessorINS3_8ArrayRefIlEET_Lm4ENS7_16DefaultPtrTraitsElEENS_6detail16IndexBoundsCheckILm5ElEESD_Lm5ESE_lEENS9_INSA_ISC_KSD_Lm4ESE_lEESI_SK_Lm5ESE_lEEiiiii.num_named_barrier, 0
	.set _ZN2at6native12_GLOBAL__N_131replication_pad_backward_kernelIN3c107complexIdEEEEvN5torch10headeronly6detail27GenericPackedTensorAccessorINS8_14TensorAccessorINS3_8ArrayRefIlEET_Lm4ENS7_16DefaultPtrTraitsElEENS_6detail16IndexBoundsCheckILm5ElEESD_Lm5ESE_lEENS9_INSA_ISC_KSD_Lm4ESE_lEESI_SK_Lm5ESE_lEEiiiii.private_seg_size, 0
	.set _ZN2at6native12_GLOBAL__N_131replication_pad_backward_kernelIN3c107complexIdEEEEvN5torch10headeronly6detail27GenericPackedTensorAccessorINS8_14TensorAccessorINS3_8ArrayRefIlEET_Lm4ENS7_16DefaultPtrTraitsElEENS_6detail16IndexBoundsCheckILm5ElEESD_Lm5ESE_lEENS9_INSA_ISC_KSD_Lm4ESE_lEESI_SK_Lm5ESE_lEEiiiii.uses_vcc, 1
	.set _ZN2at6native12_GLOBAL__N_131replication_pad_backward_kernelIN3c107complexIdEEEEvN5torch10headeronly6detail27GenericPackedTensorAccessorINS8_14TensorAccessorINS3_8ArrayRefIlEET_Lm4ENS7_16DefaultPtrTraitsElEENS_6detail16IndexBoundsCheckILm5ElEESD_Lm5ESE_lEENS9_INSA_ISC_KSD_Lm4ESE_lEESI_SK_Lm5ESE_lEEiiiii.uses_flat_scratch, 0
	.set _ZN2at6native12_GLOBAL__N_131replication_pad_backward_kernelIN3c107complexIdEEEEvN5torch10headeronly6detail27GenericPackedTensorAccessorINS8_14TensorAccessorINS3_8ArrayRefIlEET_Lm4ENS7_16DefaultPtrTraitsElEENS_6detail16IndexBoundsCheckILm5ElEESD_Lm5ESE_lEENS9_INSA_ISC_KSD_Lm4ESE_lEESI_SK_Lm5ESE_lEEiiiii.has_dyn_sized_stack, 0
	.set _ZN2at6native12_GLOBAL__N_131replication_pad_backward_kernelIN3c107complexIdEEEEvN5torch10headeronly6detail27GenericPackedTensorAccessorINS8_14TensorAccessorINS3_8ArrayRefIlEET_Lm4ENS7_16DefaultPtrTraitsElEENS_6detail16IndexBoundsCheckILm5ElEESD_Lm5ESE_lEENS9_INSA_ISC_KSD_Lm4ESE_lEESI_SK_Lm5ESE_lEEiiiii.has_recursion, 0
	.set _ZN2at6native12_GLOBAL__N_131replication_pad_backward_kernelIN3c107complexIdEEEEvN5torch10headeronly6detail27GenericPackedTensorAccessorINS8_14TensorAccessorINS3_8ArrayRefIlEET_Lm4ENS7_16DefaultPtrTraitsElEENS_6detail16IndexBoundsCheckILm5ElEESD_Lm5ESE_lEENS9_INSA_ISC_KSD_Lm4ESE_lEESI_SK_Lm5ESE_lEEiiiii.has_indirect_call, 0
	.section	.AMDGPU.csdata,"",@progbits
; Kernel info:
; codeLenInByte = 3064
; TotalNumSgprs: 42
; NumVgprs: 14
; ScratchSize: 0
; MemoryBound: 0
; FloatMode: 240
; IeeeMode: 1
; LDSByteSize: 0 bytes/workgroup (compile time only)
; SGPRBlocks: 5
; VGPRBlocks: 3
; NumSGPRsForWavesPerEU: 42
; NumVGPRsForWavesPerEU: 14
; Occupancy: 10
; WaveLimiterHint : 1
; COMPUTE_PGM_RSRC2:SCRATCH_EN: 0
; COMPUTE_PGM_RSRC2:USER_SGPR: 6
; COMPUTE_PGM_RSRC2:TRAP_HANDLER: 0
; COMPUTE_PGM_RSRC2:TGID_X_EN: 1
; COMPUTE_PGM_RSRC2:TGID_Y_EN: 1
; COMPUTE_PGM_RSRC2:TGID_Z_EN: 1
; COMPUTE_PGM_RSRC2:TIDIG_COMP_CNT: 0
	.section	.text._ZN2at6native12_GLOBAL__N_131replication_pad_backward_kernelIN3c107complexIfEEEEvN5torch10headeronly6detail27GenericPackedTensorAccessorINS8_14TensorAccessorINS3_8ArrayRefIlEET_Lm4ENS7_16DefaultPtrTraitsElEENS_6detail16IndexBoundsCheckILm5ElEESD_Lm5ESE_lEENS9_INSA_ISC_KSD_Lm4ESE_lEESI_SK_Lm5ESE_lEEiiiii,"axG",@progbits,_ZN2at6native12_GLOBAL__N_131replication_pad_backward_kernelIN3c107complexIfEEEEvN5torch10headeronly6detail27GenericPackedTensorAccessorINS8_14TensorAccessorINS3_8ArrayRefIlEET_Lm4ENS7_16DefaultPtrTraitsElEENS_6detail16IndexBoundsCheckILm5ElEESD_Lm5ESE_lEENS9_INSA_ISC_KSD_Lm4ESE_lEESI_SK_Lm5ESE_lEEiiiii,comdat
	.globl	_ZN2at6native12_GLOBAL__N_131replication_pad_backward_kernelIN3c107complexIfEEEEvN5torch10headeronly6detail27GenericPackedTensorAccessorINS8_14TensorAccessorINS3_8ArrayRefIlEET_Lm4ENS7_16DefaultPtrTraitsElEENS_6detail16IndexBoundsCheckILm5ElEESD_Lm5ESE_lEENS9_INSA_ISC_KSD_Lm4ESE_lEESI_SK_Lm5ESE_lEEiiiii ; -- Begin function _ZN2at6native12_GLOBAL__N_131replication_pad_backward_kernelIN3c107complexIfEEEEvN5torch10headeronly6detail27GenericPackedTensorAccessorINS8_14TensorAccessorINS3_8ArrayRefIlEET_Lm4ENS7_16DefaultPtrTraitsElEENS_6detail16IndexBoundsCheckILm5ElEESD_Lm5ESE_lEENS9_INSA_ISC_KSD_Lm4ESE_lEESI_SK_Lm5ESE_lEEiiiii
	.p2align	8
	.type	_ZN2at6native12_GLOBAL__N_131replication_pad_backward_kernelIN3c107complexIfEEEEvN5torch10headeronly6detail27GenericPackedTensorAccessorINS8_14TensorAccessorINS3_8ArrayRefIlEET_Lm4ENS7_16DefaultPtrTraitsElEENS_6detail16IndexBoundsCheckILm5ElEESD_Lm5ESE_lEENS9_INSA_ISC_KSD_Lm4ESE_lEESI_SK_Lm5ESE_lEEiiiii,@function
_ZN2at6native12_GLOBAL__N_131replication_pad_backward_kernelIN3c107complexIfEEEEvN5torch10headeronly6detail27GenericPackedTensorAccessorINS8_14TensorAccessorINS3_8ArrayRefIlEET_Lm4ENS7_16DefaultPtrTraitsElEENS_6detail16IndexBoundsCheckILm5ElEESD_Lm5ESE_lEENS9_INSA_ISC_KSD_Lm4ESE_lEESI_SK_Lm5ESE_lEEiiiii: ; @_ZN2at6native12_GLOBAL__N_131replication_pad_backward_kernelIN3c107complexIfEEEEvN5torch10headeronly6detail27GenericPackedTensorAccessorINS8_14TensorAccessorINS3_8ArrayRefIlEET_Lm4ENS7_16DefaultPtrTraitsElEENS_6detail16IndexBoundsCheckILm5ElEESD_Lm5ESE_lEENS9_INSA_ISC_KSD_Lm4ESE_lEESI_SK_Lm5ESE_lEEiiiii
; %bb.0:
	s_load_dword s9, s[4:5], 0xd4
	s_load_dwordx4 s[0:3], s[4:5], 0x70
	s_load_dwordx2 s[10:11], s[4:5], 0x80
	s_waitcnt lgkmcnt(0)
	s_and_b32 s9, s9, 0xffff
	s_mul_i32 s6, s6, s9
	v_add_u32_e32 v0, s6, v0
	s_mul_i32 s6, s10, s3
	s_mul_hi_u32 s9, s10, s2
	s_add_i32 s9, s9, s6
	s_mul_i32 s6, s11, s2
	s_add_i32 s9, s9, s6
	s_mul_i32 s6, s10, s2
	s_mul_i32 s1, s6, s1
	s_mul_hi_u32 s12, s6, s0
	s_add_i32 s1, s12, s1
	s_mul_i32 s12, s9, s0
	v_ashrrev_i32_e32 v1, 31, v0
	s_add_i32 s1, s1, s12
	s_mul_i32 s0, s6, s0
	v_cmp_gt_i64_e32 vcc, s[0:1], v[0:1]
	s_and_saveexec_b64 s[0:1], vcc
	s_cbranch_execz .LBB9_17
; %bb.1:
	v_or_b32_e32 v3, s11, v1
	v_mov_b32_e32 v2, 0
	v_cmp_ne_u64_e32 vcc, 0, v[2:3]
	v_ashrrev_i32_e32 v7, 31, v1
                                        ; implicit-def: $vgpr2_vgpr3
	s_and_saveexec_b64 s[0:1], vcc
	s_xor_b64 s[12:13], exec, s[0:1]
	s_cbranch_execz .LBB9_3
; %bb.2:
	s_ashr_i32 s14, s11, 31
	s_add_u32 s0, s10, s14
	s_mov_b32 s15, s14
	s_addc_u32 s1, s11, s14
	s_xor_b64 s[16:17], s[0:1], s[14:15]
	v_cvt_f32_u32_e32 v2, s16
	v_cvt_f32_u32_e32 v3, s17
	s_sub_u32 s15, 0, s16
	s_subb_u32 s18, 0, s17
	v_madmk_f32 v2, v3, 0x4f800000, v2
	v_rcp_f32_e32 v2, v2
	v_mul_f32_e32 v2, 0x5f7ffffc, v2
	v_mul_f32_e32 v3, 0x2f800000, v2
	v_trunc_f32_e32 v3, v3
	v_madmk_f32 v2, v3, 0xcf800000, v2
	v_cvt_u32_f32_e32 v3, v3
	v_cvt_u32_f32_e32 v2, v2
	v_readfirstlane_b32 s19, v3
	v_readfirstlane_b32 s0, v2
	s_mul_i32 s1, s15, s19
	s_mul_hi_u32 s21, s15, s0
	s_mul_i32 s20, s18, s0
	s_add_i32 s1, s21, s1
	s_add_i32 s1, s1, s20
	s_mul_i32 s22, s15, s0
	s_mul_i32 s21, s0, s1
	s_mul_hi_u32 s23, s0, s22
	s_mul_hi_u32 s20, s0, s1
	s_add_u32 s21, s23, s21
	s_addc_u32 s20, 0, s20
	s_mul_hi_u32 s24, s19, s22
	s_mul_i32 s22, s19, s22
	s_add_u32 s21, s21, s22
	s_mul_hi_u32 s23, s19, s1
	s_addc_u32 s20, s20, s24
	s_addc_u32 s21, s23, 0
	s_mul_i32 s1, s19, s1
	s_add_u32 s1, s20, s1
	s_addc_u32 s20, 0, s21
	s_add_u32 s21, s0, s1
	s_cselect_b64 s[0:1], -1, 0
	s_cmp_lg_u64 s[0:1], 0
	s_addc_u32 s19, s19, s20
	s_mul_i32 s0, s15, s19
	s_mul_hi_u32 s1, s15, s21
	s_add_i32 s0, s1, s0
	s_mul_i32 s18, s18, s21
	s_add_i32 s0, s0, s18
	s_mul_i32 s15, s15, s21
	s_mul_hi_u32 s18, s19, s15
	s_mul_i32 s20, s19, s15
	s_mul_i32 s23, s21, s0
	s_mul_hi_u32 s15, s21, s15
	s_mul_hi_u32 s22, s21, s0
	s_add_u32 s15, s15, s23
	s_addc_u32 s22, 0, s22
	s_add_u32 s15, s15, s20
	s_mul_hi_u32 s1, s19, s0
	s_addc_u32 s15, s22, s18
	s_addc_u32 s1, s1, 0
	s_mul_i32 s0, s19, s0
	s_add_u32 s0, s15, s0
	s_addc_u32 s15, 0, s1
	s_add_u32 s18, s21, s0
	s_cselect_b64 s[0:1], -1, 0
	s_cmp_lg_u64 s[0:1], 0
	v_add_co_u32_e32 v2, vcc, v0, v7
	s_addc_u32 s15, s19, s15
	v_xor_b32_e32 v6, v2, v7
	v_mad_u64_u32 v[2:3], s[0:1], v6, s15, 0
	v_mul_hi_u32 v5, v6, s18
	v_addc_co_u32_e32 v4, vcc, v1, v7, vcc
	v_xor_b32_e32 v8, v4, v7
	v_add_co_u32_e32 v9, vcc, v5, v2
	v_addc_co_u32_e32 v10, vcc, 0, v3, vcc
	v_mad_u64_u32 v[2:3], s[0:1], v8, s18, 0
	v_mad_u64_u32 v[4:5], s[0:1], v8, s15, 0
	v_add_co_u32_e32 v2, vcc, v9, v2
	v_addc_co_u32_e32 v2, vcc, v10, v3, vcc
	v_addc_co_u32_e32 v3, vcc, 0, v5, vcc
	v_add_co_u32_e32 v4, vcc, v2, v4
	v_addc_co_u32_e32 v5, vcc, 0, v3, vcc
	v_mul_lo_u32 v9, s17, v4
	v_mul_lo_u32 v10, s16, v5
	v_mad_u64_u32 v[2:3], s[0:1], s16, v4, 0
	v_add3_u32 v3, v3, v10, v9
	v_sub_u32_e32 v9, v8, v3
	v_mov_b32_e32 v10, s17
	v_sub_co_u32_e32 v2, vcc, v6, v2
	v_subb_co_u32_e64 v6, s[0:1], v9, v10, vcc
	v_subrev_co_u32_e64 v9, s[0:1], s16, v2
	v_subbrev_co_u32_e64 v6, s[0:1], 0, v6, s[0:1]
	v_cmp_le_u32_e64 s[0:1], s17, v6
	v_cndmask_b32_e64 v10, 0, -1, s[0:1]
	v_cmp_le_u32_e64 s[0:1], s16, v9
	v_cndmask_b32_e64 v9, 0, -1, s[0:1]
	v_cmp_eq_u32_e64 s[0:1], s17, v6
	v_cndmask_b32_e64 v6, v10, v9, s[0:1]
	v_add_co_u32_e64 v9, s[0:1], 2, v4
	v_subb_co_u32_e32 v3, vcc, v8, v3, vcc
	v_addc_co_u32_e64 v10, s[0:1], 0, v5, s[0:1]
	v_cmp_le_u32_e32 vcc, s17, v3
	v_add_co_u32_e64 v11, s[0:1], 1, v4
	v_cndmask_b32_e64 v8, 0, -1, vcc
	v_cmp_le_u32_e32 vcc, s16, v2
	v_addc_co_u32_e64 v12, s[0:1], 0, v5, s[0:1]
	v_cndmask_b32_e64 v2, 0, -1, vcc
	v_cmp_eq_u32_e32 vcc, s17, v3
	v_cmp_ne_u32_e64 s[0:1], 0, v6
	v_cndmask_b32_e32 v2, v8, v2, vcc
	v_cndmask_b32_e64 v6, v12, v10, s[0:1]
	v_cmp_ne_u32_e32 vcc, 0, v2
	v_cndmask_b32_e64 v3, v11, v9, s[0:1]
	v_cndmask_b32_e32 v2, v5, v6, vcc
	v_cndmask_b32_e32 v3, v4, v3, vcc
	v_xor_b32_e32 v4, s14, v7
	v_xor_b32_e32 v5, v2, v4
	;; [unrolled: 1-line block ×3, first 2 shown]
	v_sub_co_u32_e32 v2, vcc, v2, v4
	v_subb_co_u32_e32 v3, vcc, v5, v4, vcc
.LBB9_3:
	s_andn2_saveexec_b64 s[0:1], s[12:13]
	s_cbranch_execz .LBB9_5
; %bb.4:
	v_cvt_f32_u32_e32 v2, s10
	s_sub_i32 s12, 0, s10
	v_rcp_iflag_f32_e32 v2, v2
	v_mul_f32_e32 v2, 0x4f7ffffe, v2
	v_cvt_u32_f32_e32 v2, v2
	v_mul_lo_u32 v3, s12, v2
	v_mul_hi_u32 v3, v2, v3
	v_add_u32_e32 v2, v2, v3
	v_mul_hi_u32 v2, v0, v2
	v_mul_lo_u32 v3, v2, s10
	v_add_u32_e32 v4, 1, v2
	v_sub_u32_e32 v3, v0, v3
	v_subrev_u32_e32 v5, s10, v3
	v_cmp_le_u32_e32 vcc, s10, v3
	v_cndmask_b32_e32 v3, v3, v5, vcc
	v_cndmask_b32_e32 v2, v2, v4, vcc
	v_add_u32_e32 v4, 1, v2
	v_cmp_le_u32_e32 vcc, s10, v3
	v_cndmask_b32_e32 v2, v2, v4, vcc
	v_mov_b32_e32 v3, 0
.LBB9_5:
	s_or_b64 exec, exec, s[0:1]
	v_or_b32_e32 v5, s3, v3
	v_mov_b32_e32 v4, 0
	v_cmp_ne_u64_e32 vcc, 0, v[4:5]
                                        ; implicit-def: $vgpr4_vgpr5
	s_and_saveexec_b64 s[0:1], vcc
	s_xor_b64 s[12:13], exec, s[0:1]
	s_cbranch_execz .LBB9_7
; %bb.6:
	s_ashr_i32 s0, s3, 31
	s_add_u32 s14, s2, s0
	s_mov_b32 s1, s0
	s_addc_u32 s15, s3, s0
	s_xor_b64 s[14:15], s[14:15], s[0:1]
	v_cvt_f32_u32_e32 v4, s14
	v_cvt_f32_u32_e32 v5, s15
	s_sub_u32 s3, 0, s14
	s_subb_u32 s16, 0, s15
	v_ashrrev_i32_e32 v6, 31, v3
	v_madmk_f32 v4, v5, 0x4f800000, v4
	v_rcp_f32_e32 v4, v4
	v_mul_f32_e32 v4, 0x5f7ffffc, v4
	v_mul_f32_e32 v5, 0x2f800000, v4
	v_trunc_f32_e32 v5, v5
	v_madmk_f32 v4, v5, 0xcf800000, v4
	v_cvt_u32_f32_e32 v5, v5
	v_cvt_u32_f32_e32 v4, v4
	v_readfirstlane_b32 s17, v5
	v_readfirstlane_b32 s0, v4
	s_mul_i32 s1, s3, s17
	s_mul_hi_u32 s19, s3, s0
	s_mul_i32 s18, s16, s0
	s_add_i32 s1, s19, s1
	s_add_i32 s1, s1, s18
	s_mul_i32 s20, s3, s0
	s_mul_i32 s19, s0, s1
	s_mul_hi_u32 s21, s0, s20
	s_mul_hi_u32 s18, s0, s1
	s_add_u32 s19, s21, s19
	s_addc_u32 s18, 0, s18
	s_mul_hi_u32 s22, s17, s20
	s_mul_i32 s20, s17, s20
	s_add_u32 s19, s19, s20
	s_mul_hi_u32 s21, s17, s1
	s_addc_u32 s18, s18, s22
	s_addc_u32 s19, s21, 0
	s_mul_i32 s1, s17, s1
	s_add_u32 s1, s18, s1
	s_addc_u32 s18, 0, s19
	s_add_u32 s19, s0, s1
	s_cselect_b64 s[0:1], -1, 0
	s_cmp_lg_u64 s[0:1], 0
	s_addc_u32 s17, s17, s18
	s_mul_i32 s0, s3, s17
	s_mul_hi_u32 s1, s3, s19
	s_add_i32 s0, s1, s0
	s_mul_i32 s16, s16, s19
	s_add_i32 s0, s0, s16
	s_mul_i32 s3, s3, s19
	s_mul_hi_u32 s16, s17, s3
	s_mul_i32 s18, s17, s3
	s_mul_i32 s21, s19, s0
	s_mul_hi_u32 s3, s19, s3
	s_mul_hi_u32 s20, s19, s0
	s_add_u32 s3, s3, s21
	s_addc_u32 s20, 0, s20
	s_add_u32 s3, s3, s18
	s_mul_hi_u32 s1, s17, s0
	s_addc_u32 s3, s20, s16
	s_addc_u32 s1, s1, 0
	s_mul_i32 s0, s17, s0
	s_add_u32 s0, s3, s0
	s_addc_u32 s3, 0, s1
	s_add_u32 s16, s19, s0
	s_cselect_b64 s[0:1], -1, 0
	s_cmp_lg_u64 s[0:1], 0
	v_add_co_u32_e32 v4, vcc, v2, v6
	s_addc_u32 s3, s17, s3
	v_xor_b32_e32 v10, v4, v6
	v_mad_u64_u32 v[4:5], s[0:1], v10, s3, 0
	v_mul_hi_u32 v9, v10, s16
	v_addc_co_u32_e32 v8, vcc, v3, v6, vcc
	v_xor_b32_e32 v11, v8, v6
	v_add_co_u32_e32 v12, vcc, v9, v4
	v_addc_co_u32_e32 v13, vcc, 0, v5, vcc
	v_mad_u64_u32 v[4:5], s[0:1], v11, s16, 0
	v_mad_u64_u32 v[8:9], s[0:1], v11, s3, 0
	v_add_co_u32_e32 v4, vcc, v12, v4
	v_addc_co_u32_e32 v4, vcc, v13, v5, vcc
	v_addc_co_u32_e32 v5, vcc, 0, v9, vcc
	v_add_co_u32_e32 v4, vcc, v4, v8
	v_addc_co_u32_e32 v5, vcc, 0, v5, vcc
	v_mul_lo_u32 v8, s15, v4
	v_mul_lo_u32 v9, s14, v5
	v_mad_u64_u32 v[4:5], s[0:1], s14, v4, 0
	v_add3_u32 v5, v5, v9, v8
	v_sub_u32_e32 v8, v11, v5
	v_mov_b32_e32 v9, s15
	v_sub_co_u32_e32 v4, vcc, v10, v4
	v_subb_co_u32_e64 v8, s[0:1], v8, v9, vcc
	v_subrev_co_u32_e64 v9, s[0:1], s14, v4
	v_subbrev_co_u32_e64 v8, s[0:1], 0, v8, s[0:1]
	v_cmp_le_u32_e64 s[0:1], s15, v8
	v_subb_co_u32_e32 v5, vcc, v11, v5, vcc
	v_cndmask_b32_e64 v10, 0, -1, s[0:1]
	v_cmp_le_u32_e64 s[0:1], s14, v9
	v_cmp_le_u32_e32 vcc, s15, v5
	v_cndmask_b32_e64 v12, 0, -1, s[0:1]
	v_cmp_eq_u32_e64 s[0:1], s15, v8
	v_cndmask_b32_e64 v11, 0, -1, vcc
	v_cmp_le_u32_e32 vcc, s14, v4
	v_cndmask_b32_e64 v8, v10, v12, s[0:1]
	v_cndmask_b32_e64 v12, 0, -1, vcc
	v_cmp_eq_u32_e32 vcc, s15, v5
	v_subrev_co_u32_e64 v10, s[0:1], s14, v9
	v_cndmask_b32_e32 v5, v11, v12, vcc
	v_cmp_ne_u32_e32 vcc, 0, v8
	v_cndmask_b32_e32 v8, v9, v10, vcc
	v_cmp_ne_u32_e32 vcc, 0, v5
	v_cndmask_b32_e32 v4, v4, v8, vcc
	v_xor_b32_e32 v4, v4, v6
	v_sub_co_u32_e32 v4, vcc, v4, v6
.LBB9_7:
	s_andn2_saveexec_b64 s[0:1], s[12:13]
	s_cbranch_execz .LBB9_9
; %bb.8:
	v_cvt_f32_u32_e32 v4, s2
	s_sub_i32 s3, 0, s2
	v_rcp_iflag_f32_e32 v4, v4
	v_mul_f32_e32 v4, 0x4f7ffffe, v4
	v_cvt_u32_f32_e32 v4, v4
	v_mul_lo_u32 v5, s3, v4
	v_mul_hi_u32 v5, v4, v5
	v_add_u32_e32 v4, v4, v5
	v_mul_hi_u32 v4, v2, v4
	v_mul_lo_u32 v4, v4, s2
	v_sub_u32_e32 v4, v2, v4
	v_subrev_u32_e32 v5, s2, v4
	v_cmp_le_u32_e32 vcc, s2, v4
	v_cndmask_b32_e32 v4, v4, v5, vcc
	v_subrev_u32_e32 v5, s2, v4
	v_cmp_le_u32_e32 vcc, s2, v4
	v_cndmask_b32_e32 v4, v4, v5, vcc
.LBB9_9:
	s_or_b64 exec, exec, s[0:1]
	v_or_b32_e32 v6, s9, v1
	v_mov_b32_e32 v5, 0
	v_cmp_ne_u64_e32 vcc, 0, v[5:6]
                                        ; implicit-def: $vgpr5_vgpr6
	s_and_saveexec_b64 s[0:1], vcc
	s_xor_b64 s[2:3], exec, s[0:1]
	s_cbranch_execz .LBB9_11
; %bb.10:
	s_ashr_i32 s12, s9, 31
	s_add_u32 s0, s6, s12
	s_mov_b32 s13, s12
	s_addc_u32 s1, s9, s12
	s_xor_b64 s[14:15], s[0:1], s[12:13]
	v_cvt_f32_u32_e32 v5, s14
	v_cvt_f32_u32_e32 v6, s15
	s_sub_u32 s9, 0, s14
	s_subb_u32 s13, 0, s15
	v_madmk_f32 v5, v6, 0x4f800000, v5
	v_rcp_f32_e32 v5, v5
	v_mul_f32_e32 v5, 0x5f7ffffc, v5
	v_mul_f32_e32 v6, 0x2f800000, v5
	v_trunc_f32_e32 v6, v6
	v_madmk_f32 v5, v6, 0xcf800000, v5
	v_cvt_u32_f32_e32 v6, v6
	v_cvt_u32_f32_e32 v5, v5
	v_readfirstlane_b32 s16, v6
	v_readfirstlane_b32 s0, v5
	s_mul_i32 s1, s9, s16
	s_mul_hi_u32 s18, s9, s0
	s_mul_i32 s17, s13, s0
	s_add_i32 s1, s18, s1
	s_add_i32 s1, s1, s17
	s_mul_i32 s19, s9, s0
	s_mul_i32 s18, s0, s1
	s_mul_hi_u32 s20, s0, s19
	s_mul_hi_u32 s17, s0, s1
	s_add_u32 s18, s20, s18
	s_addc_u32 s17, 0, s17
	s_mul_hi_u32 s21, s16, s19
	s_mul_i32 s19, s16, s19
	s_add_u32 s18, s18, s19
	s_mul_hi_u32 s20, s16, s1
	s_addc_u32 s17, s17, s21
	s_addc_u32 s18, s20, 0
	s_mul_i32 s1, s16, s1
	s_add_u32 s1, s17, s1
	s_addc_u32 s17, 0, s18
	s_add_u32 s18, s0, s1
	s_cselect_b64 s[0:1], -1, 0
	s_cmp_lg_u64 s[0:1], 0
	s_addc_u32 s16, s16, s17
	s_mul_i32 s0, s9, s16
	s_mul_hi_u32 s1, s9, s18
	s_add_i32 s0, s1, s0
	s_mul_i32 s13, s13, s18
	s_add_i32 s0, s0, s13
	s_mul_i32 s9, s9, s18
	s_mul_hi_u32 s13, s16, s9
	s_mul_i32 s17, s16, s9
	s_mul_i32 s20, s18, s0
	s_mul_hi_u32 s9, s18, s9
	s_mul_hi_u32 s19, s18, s0
	s_add_u32 s9, s9, s20
	s_addc_u32 s19, 0, s19
	s_add_u32 s9, s9, s17
	s_mul_hi_u32 s1, s16, s0
	s_addc_u32 s9, s19, s13
	s_addc_u32 s1, s1, 0
	s_mul_i32 s0, s16, s0
	s_add_u32 s0, s9, s0
	s_addc_u32 s9, 0, s1
	s_add_u32 s13, s18, s0
	s_cselect_b64 s[0:1], -1, 0
	s_cmp_lg_u64 s[0:1], 0
	v_add_co_u32_e32 v5, vcc, v0, v7
	s_addc_u32 s9, s16, s9
	v_xor_b32_e32 v10, v5, v7
	v_mad_u64_u32 v[5:6], s[0:1], v10, s9, 0
	v_mul_hi_u32 v9, v10, s13
	v_addc_co_u32_e32 v8, vcc, v1, v7, vcc
	v_xor_b32_e32 v11, v8, v7
	v_add_co_u32_e32 v12, vcc, v9, v5
	v_addc_co_u32_e32 v13, vcc, 0, v6, vcc
	v_mad_u64_u32 v[5:6], s[0:1], v11, s13, 0
	v_mad_u64_u32 v[8:9], s[0:1], v11, s9, 0
	v_add_co_u32_e32 v5, vcc, v12, v5
	v_addc_co_u32_e32 v5, vcc, v13, v6, vcc
	v_addc_co_u32_e32 v6, vcc, 0, v9, vcc
	v_add_co_u32_e32 v8, vcc, v5, v8
	v_addc_co_u32_e32 v5, vcc, 0, v6, vcc
	v_mul_lo_u32 v9, s15, v8
	v_mul_lo_u32 v12, s14, v5
	v_mad_u64_u32 v[5:6], s[0:1], s14, v8, 0
	v_add3_u32 v6, v6, v12, v9
	v_sub_u32_e32 v9, v11, v6
	v_mov_b32_e32 v12, s15
	v_sub_co_u32_e32 v5, vcc, v10, v5
	v_subb_co_u32_e64 v9, s[0:1], v9, v12, vcc
	v_subrev_co_u32_e64 v10, s[0:1], s14, v5
	v_subbrev_co_u32_e64 v9, s[0:1], 0, v9, s[0:1]
	v_cmp_le_u32_e64 s[0:1], s15, v9
	v_subb_co_u32_e32 v6, vcc, v11, v6, vcc
	v_cndmask_b32_e64 v12, 0, -1, s[0:1]
	v_cmp_le_u32_e64 s[0:1], s14, v10
	v_cmp_le_u32_e32 vcc, s15, v6
	v_cndmask_b32_e64 v10, 0, -1, s[0:1]
	v_cmp_eq_u32_e64 s[0:1], s15, v9
	v_cndmask_b32_e64 v11, 0, -1, vcc
	v_cmp_le_u32_e32 vcc, s14, v5
	v_cndmask_b32_e64 v9, v12, v10, s[0:1]
	v_cndmask_b32_e64 v5, 0, -1, vcc
	v_cmp_eq_u32_e32 vcc, s15, v6
	v_add_co_u32_e64 v10, s[0:1], 2, v8
	v_add_co_u32_e64 v12, s[0:1], 1, v8
	v_cndmask_b32_e32 v5, v11, v5, vcc
	v_cmp_ne_u32_e32 vcc, 0, v9
	v_cndmask_b32_e32 v6, v12, v10, vcc
	v_cmp_ne_u32_e32 vcc, 0, v5
	v_cndmask_b32_e32 v5, v8, v6, vcc
	v_xor_b32_e32 v6, s12, v7
	v_xor_b32_e32 v5, v5, v6
	v_sub_co_u32_e32 v5, vcc, v5, v6
.LBB9_11:
	s_andn2_saveexec_b64 s[0:1], s[2:3]
	s_cbranch_execz .LBB9_13
; %bb.12:
	v_cvt_f32_u32_e32 v5, s6
	s_sub_i32 s2, 0, s6
	v_rcp_iflag_f32_e32 v5, v5
	v_mul_f32_e32 v5, 0x4f7ffffe, v5
	v_cvt_u32_f32_e32 v5, v5
	v_mul_lo_u32 v6, s2, v5
	v_mul_hi_u32 v6, v5, v6
	v_add_u32_e32 v5, v5, v6
	v_mul_hi_u32 v5, v0, v5
	v_mul_lo_u32 v6, v5, s6
	v_add_u32_e32 v7, 1, v5
	v_sub_u32_e32 v6, v0, v6
	v_subrev_u32_e32 v8, s6, v6
	v_cmp_le_u32_e32 vcc, s6, v6
	v_cndmask_b32_e32 v6, v6, v8, vcc
	v_cndmask_b32_e32 v5, v5, v7, vcc
	v_add_u32_e32 v7, 1, v5
	v_cmp_le_u32_e32 vcc, s6, v6
	v_cndmask_b32_e32 v5, v5, v7, vcc
.LBB9_13:
	s_or_b64 exec, exec, s[0:1]
	v_mul_lo_u32 v6, v3, s10
	v_mul_lo_u32 v7, v2, s11
	v_mad_u64_u32 v[2:3], s[0:1], v2, s10, 0
	s_load_dwordx4 s[0:3], s[4:5], 0xb0
	s_load_dword s6, s[4:5], 0xc0
	s_load_dwordx2 s[34:35], s[4:5], 0xa8
	v_add3_u32 v3, v3, v7, v6
	v_sub_co_u32_e32 v6, vcc, v0, v2
	s_waitcnt lgkmcnt(0)
	s_add_i32 s33, s6, s8
	s_load_dwordx16 s[8:23], s[4:5], 0x18
	s_add_i32 s36, s3, s7
	s_sub_i32 s3, 0, s2
	s_max_i32 s25, s2, 0
	v_max_i32_e32 v0, s2, v6
	s_waitcnt lgkmcnt(0)
	s_add_i32 s2, s2, s12
	s_max_i32 s3, s3, 0
	s_add_i32 s2, s2, -1
	v_min_i32_e32 v0, s2, v0
	s_sub_i32 s2, s3, s25
	s_sub_i32 s6, 0, s1
	s_max_i32 s9, s1, 0
	v_add_u32_e32 v2, s2, v0
	v_max_i32_e32 v0, s1, v4
	s_add_i32 s1, s1, s10
	s_max_i32 s24, s6, 0
	s_add_i32 s1, s1, -1
	v_min_i32_e32 v0, s1, v0
	s_sub_i32 s1, s24, s9
	s_load_dwordx8 s[24:31], s[4:5], 0x88
	s_sub_i32 s6, 0, s0
	s_max_i32 s11, s0, 0
	v_add_u32_e32 v8, s1, v0
	v_max_i32_e32 v0, s0, v5
	s_add_i32 s0, s0, s8
	s_max_i32 s37, s6, 0
	s_add_i32 s0, s0, -1
	v_min_i32_e32 v0, s0, v0
	s_sub_i32 s0, s37, s11
	v_add_u32_e32 v9, s0, v0
	s_ashr_i32 s8, s33, 31
	s_load_dwordx2 s[0:1], s[4:5], 0x58
	s_waitcnt lgkmcnt(0)
	s_mul_i32 s2, s24, s8
	s_mul_hi_u32 s3, s24, s33
	s_add_i32 s2, s3, s2
	s_mul_i32 s3, s25, s33
	s_add_i32 s3, s2, s3
	s_mul_i32 s2, s24, s33
	s_lshl_b64 s[2:3], s[2:3], 3
	s_load_dwordx2 s[6:7], s[4:5], 0x0
	s_add_u32 s4, s0, s2
	s_addc_u32 s5, s1, s3
	s_ashr_i32 s9, s36, 31
	s_mul_i32 s0, s26, s9
	s_mul_hi_u32 s1, s26, s36
	v_ashrrev_i32_e32 v0, 31, v5
	v_subb_co_u32_e32 v7, vcc, v1, v3, vcc
	s_add_i32 s0, s1, s0
	s_mul_i32 s1, s27, s36
	v_mul_lo_u32 v3, s29, v5
	v_mul_lo_u32 v10, s28, v0
	v_mad_u64_u32 v[0:1], s[2:3], s28, v5, 0
	s_add_i32 s1, s0, s1
	s_mul_i32 s0, s26, s36
	s_lshl_b64 s[0:1], s[0:1], 3
	s_add_u32 s2, s4, s0
	s_addc_u32 s0, s5, s1
	v_add3_u32 v1, v1, v10, v3
	v_ashrrev_i32_e32 v3, 31, v4
	v_mov_b32_e32 v5, s0
	v_mul_lo_u32 v10, s31, v4
	v_mul_lo_u32 v11, s30, v3
	v_mad_u64_u32 v[3:4], s[0:1], s30, v4, 0
	v_lshlrev_b64 v[0:1], 3, v[0:1]
	v_mul_lo_u32 v7, s34, v7
	v_add_co_u32_e32 v12, vcc, s2, v0
	v_add3_u32 v4, v4, v11, v10
	v_addc_co_u32_e32 v5, vcc, v5, v1, vcc
	v_lshlrev_b64 v[0:1], 3, v[3:4]
	v_mul_lo_u32 v10, s35, v6
	v_mad_u64_u32 v[3:4], s[0:1], s34, v6, 0
	s_mul_i32 s0, s14, s8
	s_mul_hi_u32 s1, s14, s33
	s_add_i32 s0, s1, s0
	s_mul_i32 s1, s15, s33
	v_add_co_u32_e32 v6, vcc, v12, v0
	v_add3_u32 v4, v4, v7, v10
	s_add_i32 s1, s0, s1
	s_mul_i32 s0, s14, s33
	v_addc_co_u32_e32 v5, vcc, v5, v1, vcc
	v_lshlrev_b64 v[0:1], 3, v[3:4]
	s_lshl_b64 s[0:1], s[0:1], 3
	s_waitcnt lgkmcnt(0)
	s_add_u32 s4, s6, s0
	v_add_co_u32_e32 v0, vcc, v6, v0
	s_addc_u32 s5, s7, s1
	s_mul_i32 s0, s16, s9
	s_mul_hi_u32 s1, s16, s36
	v_ashrrev_i32_e32 v3, 31, v9
	v_addc_co_u32_e32 v1, vcc, v5, v1, vcc
	s_add_i32 s0, s1, s0
	s_mul_i32 s1, s17, s36
	v_mul_lo_u32 v5, s18, v3
	v_mul_lo_u32 v6, s19, v9
	v_mad_u64_u32 v[3:4], s[2:3], s18, v9, 0
	s_add_i32 s1, s0, s1
	s_mul_i32 s0, s16, s36
	s_lshl_b64 s[0:1], s[0:1], 3
	s_add_u32 s2, s4, s0
	s_addc_u32 s0, s5, s1
	v_add3_u32 v4, v4, v5, v6
	v_ashrrev_i32_e32 v5, 31, v8
	v_mov_b32_e32 v7, s0
	v_mul_lo_u32 v9, s20, v5
	v_mul_lo_u32 v10, s21, v8
	v_mad_u64_u32 v[5:6], s[0:1], s20, v8, 0
	v_lshlrev_b64 v[3:4], 3, v[3:4]
	global_load_dwordx2 v[0:1], v[0:1], off
	v_add_co_u32_e32 v8, vcc, s2, v3
	v_add3_u32 v6, v6, v9, v10
	v_addc_co_u32_e32 v7, vcc, v7, v4, vcc
	v_lshlrev_b64 v[3:4], 3, v[5:6]
	v_ashrrev_i32_e32 v5, 31, v2
	v_mul_lo_u32 v9, s22, v5
	v_mul_lo_u32 v10, s23, v2
	v_mad_u64_u32 v[5:6], s[0:1], s22, v2, 0
	v_add_co_u32_e32 v8, vcc, v8, v3
	v_add3_u32 v6, v6, v9, v10
	v_lshlrev_b64 v[2:3], 3, v[5:6]
	v_addc_co_u32_e32 v4, vcc, v7, v4, vcc
	v_add_co_u32_e32 v2, vcc, v8, v2
	v_addc_co_u32_e32 v3, vcc, v4, v3, vcc
	global_load_dword v5, v[2:3], off
	s_mov_b64 s[0:1], 0
.LBB9_14:                               ; =>This Inner Loop Header: Depth=1
	s_waitcnt vmcnt(0)
	v_add_f32_e32 v4, v5, v0
	global_atomic_cmpswap v4, v[2:3], v[4:5], off glc
	s_waitcnt vmcnt(0)
	v_cmp_eq_u32_e32 vcc, v4, v5
	s_or_b64 s[0:1], vcc, s[0:1]
	v_mov_b32_e32 v5, v4
	s_andn2_b64 exec, exec, s[0:1]
	s_cbranch_execnz .LBB9_14
; %bb.15:
	s_or_b64 exec, exec, s[0:1]
	global_load_dword v5, v[2:3], off offset:4
	s_mov_b64 s[0:1], 0
.LBB9_16:                               ; =>This Inner Loop Header: Depth=1
	s_waitcnt vmcnt(0)
	v_add_f32_e32 v4, v5, v1
	global_atomic_cmpswap v0, v[2:3], v[4:5], off offset:4 glc
	s_waitcnt vmcnt(0)
	v_cmp_eq_u32_e32 vcc, v0, v5
	s_or_b64 s[0:1], vcc, s[0:1]
	v_mov_b32_e32 v5, v0
	s_andn2_b64 exec, exec, s[0:1]
	s_cbranch_execnz .LBB9_16
.LBB9_17:
	s_endpgm
	.section	.rodata,"a",@progbits
	.p2align	6, 0x0
	.amdhsa_kernel _ZN2at6native12_GLOBAL__N_131replication_pad_backward_kernelIN3c107complexIfEEEEvN5torch10headeronly6detail27GenericPackedTensorAccessorINS8_14TensorAccessorINS3_8ArrayRefIlEET_Lm4ENS7_16DefaultPtrTraitsElEENS_6detail16IndexBoundsCheckILm5ElEESD_Lm5ESE_lEENS9_INSA_ISC_KSD_Lm4ESE_lEESI_SK_Lm5ESE_lEEiiiii
		.amdhsa_group_segment_fixed_size 0
		.amdhsa_private_segment_fixed_size 0
		.amdhsa_kernarg_size 456
		.amdhsa_user_sgpr_count 6
		.amdhsa_user_sgpr_private_segment_buffer 1
		.amdhsa_user_sgpr_dispatch_ptr 0
		.amdhsa_user_sgpr_queue_ptr 0
		.amdhsa_user_sgpr_kernarg_segment_ptr 1
		.amdhsa_user_sgpr_dispatch_id 0
		.amdhsa_user_sgpr_flat_scratch_init 0
		.amdhsa_user_sgpr_private_segment_size 0
		.amdhsa_uses_dynamic_stack 0
		.amdhsa_system_sgpr_private_segment_wavefront_offset 0
		.amdhsa_system_sgpr_workgroup_id_x 1
		.amdhsa_system_sgpr_workgroup_id_y 1
		.amdhsa_system_sgpr_workgroup_id_z 1
		.amdhsa_system_sgpr_workgroup_info 0
		.amdhsa_system_vgpr_workitem_id 0
		.amdhsa_next_free_vgpr 14
		.amdhsa_next_free_sgpr 38
		.amdhsa_reserve_vcc 1
		.amdhsa_reserve_flat_scratch 0
		.amdhsa_float_round_mode_32 0
		.amdhsa_float_round_mode_16_64 0
		.amdhsa_float_denorm_mode_32 3
		.amdhsa_float_denorm_mode_16_64 3
		.amdhsa_dx10_clamp 1
		.amdhsa_ieee_mode 1
		.amdhsa_fp16_overflow 0
		.amdhsa_exception_fp_ieee_invalid_op 0
		.amdhsa_exception_fp_denorm_src 0
		.amdhsa_exception_fp_ieee_div_zero 0
		.amdhsa_exception_fp_ieee_overflow 0
		.amdhsa_exception_fp_ieee_underflow 0
		.amdhsa_exception_fp_ieee_inexact 0
		.amdhsa_exception_int_div_zero 0
	.end_amdhsa_kernel
	.section	.text._ZN2at6native12_GLOBAL__N_131replication_pad_backward_kernelIN3c107complexIfEEEEvN5torch10headeronly6detail27GenericPackedTensorAccessorINS8_14TensorAccessorINS3_8ArrayRefIlEET_Lm4ENS7_16DefaultPtrTraitsElEENS_6detail16IndexBoundsCheckILm5ElEESD_Lm5ESE_lEENS9_INSA_ISC_KSD_Lm4ESE_lEESI_SK_Lm5ESE_lEEiiiii,"axG",@progbits,_ZN2at6native12_GLOBAL__N_131replication_pad_backward_kernelIN3c107complexIfEEEEvN5torch10headeronly6detail27GenericPackedTensorAccessorINS8_14TensorAccessorINS3_8ArrayRefIlEET_Lm4ENS7_16DefaultPtrTraitsElEENS_6detail16IndexBoundsCheckILm5ElEESD_Lm5ESE_lEENS9_INSA_ISC_KSD_Lm4ESE_lEESI_SK_Lm5ESE_lEEiiiii,comdat
.Lfunc_end9:
	.size	_ZN2at6native12_GLOBAL__N_131replication_pad_backward_kernelIN3c107complexIfEEEEvN5torch10headeronly6detail27GenericPackedTensorAccessorINS8_14TensorAccessorINS3_8ArrayRefIlEET_Lm4ENS7_16DefaultPtrTraitsElEENS_6detail16IndexBoundsCheckILm5ElEESD_Lm5ESE_lEENS9_INSA_ISC_KSD_Lm4ESE_lEESI_SK_Lm5ESE_lEEiiiii, .Lfunc_end9-_ZN2at6native12_GLOBAL__N_131replication_pad_backward_kernelIN3c107complexIfEEEEvN5torch10headeronly6detail27GenericPackedTensorAccessorINS8_14TensorAccessorINS3_8ArrayRefIlEET_Lm4ENS7_16DefaultPtrTraitsElEENS_6detail16IndexBoundsCheckILm5ElEESD_Lm5ESE_lEENS9_INSA_ISC_KSD_Lm4ESE_lEESI_SK_Lm5ESE_lEEiiiii
                                        ; -- End function
	.set _ZN2at6native12_GLOBAL__N_131replication_pad_backward_kernelIN3c107complexIfEEEEvN5torch10headeronly6detail27GenericPackedTensorAccessorINS8_14TensorAccessorINS3_8ArrayRefIlEET_Lm4ENS7_16DefaultPtrTraitsElEENS_6detail16IndexBoundsCheckILm5ElEESD_Lm5ESE_lEENS9_INSA_ISC_KSD_Lm4ESE_lEESI_SK_Lm5ESE_lEEiiiii.num_vgpr, 14
	.set _ZN2at6native12_GLOBAL__N_131replication_pad_backward_kernelIN3c107complexIfEEEEvN5torch10headeronly6detail27GenericPackedTensorAccessorINS8_14TensorAccessorINS3_8ArrayRefIlEET_Lm4ENS7_16DefaultPtrTraitsElEENS_6detail16IndexBoundsCheckILm5ElEESD_Lm5ESE_lEENS9_INSA_ISC_KSD_Lm4ESE_lEESI_SK_Lm5ESE_lEEiiiii.num_agpr, 0
	.set _ZN2at6native12_GLOBAL__N_131replication_pad_backward_kernelIN3c107complexIfEEEEvN5torch10headeronly6detail27GenericPackedTensorAccessorINS8_14TensorAccessorINS3_8ArrayRefIlEET_Lm4ENS7_16DefaultPtrTraitsElEENS_6detail16IndexBoundsCheckILm5ElEESD_Lm5ESE_lEENS9_INSA_ISC_KSD_Lm4ESE_lEESI_SK_Lm5ESE_lEEiiiii.numbered_sgpr, 38
	.set _ZN2at6native12_GLOBAL__N_131replication_pad_backward_kernelIN3c107complexIfEEEEvN5torch10headeronly6detail27GenericPackedTensorAccessorINS8_14TensorAccessorINS3_8ArrayRefIlEET_Lm4ENS7_16DefaultPtrTraitsElEENS_6detail16IndexBoundsCheckILm5ElEESD_Lm5ESE_lEENS9_INSA_ISC_KSD_Lm4ESE_lEESI_SK_Lm5ESE_lEEiiiii.num_named_barrier, 0
	.set _ZN2at6native12_GLOBAL__N_131replication_pad_backward_kernelIN3c107complexIfEEEEvN5torch10headeronly6detail27GenericPackedTensorAccessorINS8_14TensorAccessorINS3_8ArrayRefIlEET_Lm4ENS7_16DefaultPtrTraitsElEENS_6detail16IndexBoundsCheckILm5ElEESD_Lm5ESE_lEENS9_INSA_ISC_KSD_Lm4ESE_lEESI_SK_Lm5ESE_lEEiiiii.private_seg_size, 0
	.set _ZN2at6native12_GLOBAL__N_131replication_pad_backward_kernelIN3c107complexIfEEEEvN5torch10headeronly6detail27GenericPackedTensorAccessorINS8_14TensorAccessorINS3_8ArrayRefIlEET_Lm4ENS7_16DefaultPtrTraitsElEENS_6detail16IndexBoundsCheckILm5ElEESD_Lm5ESE_lEENS9_INSA_ISC_KSD_Lm4ESE_lEESI_SK_Lm5ESE_lEEiiiii.uses_vcc, 1
	.set _ZN2at6native12_GLOBAL__N_131replication_pad_backward_kernelIN3c107complexIfEEEEvN5torch10headeronly6detail27GenericPackedTensorAccessorINS8_14TensorAccessorINS3_8ArrayRefIlEET_Lm4ENS7_16DefaultPtrTraitsElEENS_6detail16IndexBoundsCheckILm5ElEESD_Lm5ESE_lEENS9_INSA_ISC_KSD_Lm4ESE_lEESI_SK_Lm5ESE_lEEiiiii.uses_flat_scratch, 0
	.set _ZN2at6native12_GLOBAL__N_131replication_pad_backward_kernelIN3c107complexIfEEEEvN5torch10headeronly6detail27GenericPackedTensorAccessorINS8_14TensorAccessorINS3_8ArrayRefIlEET_Lm4ENS7_16DefaultPtrTraitsElEENS_6detail16IndexBoundsCheckILm5ElEESD_Lm5ESE_lEENS9_INSA_ISC_KSD_Lm4ESE_lEESI_SK_Lm5ESE_lEEiiiii.has_dyn_sized_stack, 0
	.set _ZN2at6native12_GLOBAL__N_131replication_pad_backward_kernelIN3c107complexIfEEEEvN5torch10headeronly6detail27GenericPackedTensorAccessorINS8_14TensorAccessorINS3_8ArrayRefIlEET_Lm4ENS7_16DefaultPtrTraitsElEENS_6detail16IndexBoundsCheckILm5ElEESD_Lm5ESE_lEENS9_INSA_ISC_KSD_Lm4ESE_lEESI_SK_Lm5ESE_lEEiiiii.has_recursion, 0
	.set _ZN2at6native12_GLOBAL__N_131replication_pad_backward_kernelIN3c107complexIfEEEEvN5torch10headeronly6detail27GenericPackedTensorAccessorINS8_14TensorAccessorINS3_8ArrayRefIlEET_Lm4ENS7_16DefaultPtrTraitsElEENS_6detail16IndexBoundsCheckILm5ElEESD_Lm5ESE_lEENS9_INSA_ISC_KSD_Lm4ESE_lEESI_SK_Lm5ESE_lEEiiiii.has_indirect_call, 0
	.section	.AMDGPU.csdata,"",@progbits
; Kernel info:
; codeLenInByte = 3048
; TotalNumSgprs: 42
; NumVgprs: 14
; ScratchSize: 0
; MemoryBound: 0
; FloatMode: 240
; IeeeMode: 1
; LDSByteSize: 0 bytes/workgroup (compile time only)
; SGPRBlocks: 5
; VGPRBlocks: 3
; NumSGPRsForWavesPerEU: 42
; NumVGPRsForWavesPerEU: 14
; Occupancy: 10
; WaveLimiterHint : 1
; COMPUTE_PGM_RSRC2:SCRATCH_EN: 0
; COMPUTE_PGM_RSRC2:USER_SGPR: 6
; COMPUTE_PGM_RSRC2:TRAP_HANDLER: 0
; COMPUTE_PGM_RSRC2:TGID_X_EN: 1
; COMPUTE_PGM_RSRC2:TGID_Y_EN: 1
; COMPUTE_PGM_RSRC2:TGID_Z_EN: 1
; COMPUTE_PGM_RSRC2:TIDIG_COMP_CNT: 0
	.section	.text._ZN2at6native12_GLOBAL__N_131replication_pad_backward_kernelIN3c104HalfEEEvN5torch10headeronly6detail27GenericPackedTensorAccessorINS7_14TensorAccessorINS3_8ArrayRefIlEET_Lm4ENS6_16DefaultPtrTraitsElEENS_6detail16IndexBoundsCheckILm5ElEESC_Lm5ESD_lEENS8_INS9_ISB_KSC_Lm4ESD_lEESH_SJ_Lm5ESD_lEEiiiii,"axG",@progbits,_ZN2at6native12_GLOBAL__N_131replication_pad_backward_kernelIN3c104HalfEEEvN5torch10headeronly6detail27GenericPackedTensorAccessorINS7_14TensorAccessorINS3_8ArrayRefIlEET_Lm4ENS6_16DefaultPtrTraitsElEENS_6detail16IndexBoundsCheckILm5ElEESC_Lm5ESD_lEENS8_INS9_ISB_KSC_Lm4ESD_lEESH_SJ_Lm5ESD_lEEiiiii,comdat
	.globl	_ZN2at6native12_GLOBAL__N_131replication_pad_backward_kernelIN3c104HalfEEEvN5torch10headeronly6detail27GenericPackedTensorAccessorINS7_14TensorAccessorINS3_8ArrayRefIlEET_Lm4ENS6_16DefaultPtrTraitsElEENS_6detail16IndexBoundsCheckILm5ElEESC_Lm5ESD_lEENS8_INS9_ISB_KSC_Lm4ESD_lEESH_SJ_Lm5ESD_lEEiiiii ; -- Begin function _ZN2at6native12_GLOBAL__N_131replication_pad_backward_kernelIN3c104HalfEEEvN5torch10headeronly6detail27GenericPackedTensorAccessorINS7_14TensorAccessorINS3_8ArrayRefIlEET_Lm4ENS6_16DefaultPtrTraitsElEENS_6detail16IndexBoundsCheckILm5ElEESC_Lm5ESD_lEENS8_INS9_ISB_KSC_Lm4ESD_lEESH_SJ_Lm5ESD_lEEiiiii
	.p2align	8
	.type	_ZN2at6native12_GLOBAL__N_131replication_pad_backward_kernelIN3c104HalfEEEvN5torch10headeronly6detail27GenericPackedTensorAccessorINS7_14TensorAccessorINS3_8ArrayRefIlEET_Lm4ENS6_16DefaultPtrTraitsElEENS_6detail16IndexBoundsCheckILm5ElEESC_Lm5ESD_lEENS8_INS9_ISB_KSC_Lm4ESD_lEESH_SJ_Lm5ESD_lEEiiiii,@function
_ZN2at6native12_GLOBAL__N_131replication_pad_backward_kernelIN3c104HalfEEEvN5torch10headeronly6detail27GenericPackedTensorAccessorINS7_14TensorAccessorINS3_8ArrayRefIlEET_Lm4ENS6_16DefaultPtrTraitsElEENS_6detail16IndexBoundsCheckILm5ElEESC_Lm5ESD_lEENS8_INS9_ISB_KSC_Lm4ESD_lEESH_SJ_Lm5ESD_lEEiiiii: ; @_ZN2at6native12_GLOBAL__N_131replication_pad_backward_kernelIN3c104HalfEEEvN5torch10headeronly6detail27GenericPackedTensorAccessorINS7_14TensorAccessorINS3_8ArrayRefIlEET_Lm4ENS6_16DefaultPtrTraitsElEENS_6detail16IndexBoundsCheckILm5ElEESC_Lm5ESD_lEENS8_INS9_ISB_KSC_Lm4ESD_lEESH_SJ_Lm5ESD_lEEiiiii
; %bb.0:
	s_load_dword s9, s[4:5], 0xd4
	s_load_dwordx4 s[0:3], s[4:5], 0x70
	s_load_dwordx2 s[10:11], s[4:5], 0x80
	s_waitcnt lgkmcnt(0)
	s_and_b32 s9, s9, 0xffff
	s_mul_i32 s6, s6, s9
	v_add_u32_e32 v0, s6, v0
	s_mul_i32 s6, s10, s3
	s_mul_hi_u32 s9, s10, s2
	s_add_i32 s9, s9, s6
	s_mul_i32 s6, s11, s2
	s_add_i32 s9, s9, s6
	s_mul_i32 s6, s10, s2
	s_mul_i32 s1, s6, s1
	s_mul_hi_u32 s12, s6, s0
	s_add_i32 s1, s12, s1
	s_mul_i32 s12, s9, s0
	v_ashrrev_i32_e32 v1, 31, v0
	s_add_i32 s1, s1, s12
	s_mul_i32 s0, s6, s0
	v_cmp_gt_i64_e32 vcc, s[0:1], v[0:1]
	s_and_saveexec_b64 s[0:1], vcc
	s_cbranch_execz .LBB10_19
; %bb.1:
	v_or_b32_e32 v3, s11, v1
	v_mov_b32_e32 v2, 0
	v_cmp_ne_u64_e32 vcc, 0, v[2:3]
	v_ashrrev_i32_e32 v7, 31, v1
                                        ; implicit-def: $vgpr2_vgpr3
	s_and_saveexec_b64 s[0:1], vcc
	s_xor_b64 s[12:13], exec, s[0:1]
	s_cbranch_execz .LBB10_3
; %bb.2:
	s_ashr_i32 s14, s11, 31
	s_add_u32 s0, s10, s14
	s_mov_b32 s15, s14
	s_addc_u32 s1, s11, s14
	s_xor_b64 s[16:17], s[0:1], s[14:15]
	v_cvt_f32_u32_e32 v2, s16
	v_cvt_f32_u32_e32 v3, s17
	s_sub_u32 s15, 0, s16
	s_subb_u32 s18, 0, s17
	v_madmk_f32 v2, v3, 0x4f800000, v2
	v_rcp_f32_e32 v2, v2
	v_mul_f32_e32 v2, 0x5f7ffffc, v2
	v_mul_f32_e32 v3, 0x2f800000, v2
	v_trunc_f32_e32 v3, v3
	v_madmk_f32 v2, v3, 0xcf800000, v2
	v_cvt_u32_f32_e32 v3, v3
	v_cvt_u32_f32_e32 v2, v2
	v_readfirstlane_b32 s19, v3
	v_readfirstlane_b32 s0, v2
	s_mul_i32 s1, s15, s19
	s_mul_hi_u32 s21, s15, s0
	s_mul_i32 s20, s18, s0
	s_add_i32 s1, s21, s1
	s_add_i32 s1, s1, s20
	s_mul_i32 s22, s15, s0
	s_mul_i32 s21, s0, s1
	s_mul_hi_u32 s23, s0, s22
	s_mul_hi_u32 s20, s0, s1
	s_add_u32 s21, s23, s21
	s_addc_u32 s20, 0, s20
	s_mul_hi_u32 s24, s19, s22
	s_mul_i32 s22, s19, s22
	s_add_u32 s21, s21, s22
	s_mul_hi_u32 s23, s19, s1
	s_addc_u32 s20, s20, s24
	s_addc_u32 s21, s23, 0
	s_mul_i32 s1, s19, s1
	s_add_u32 s1, s20, s1
	s_addc_u32 s20, 0, s21
	s_add_u32 s21, s0, s1
	s_cselect_b64 s[0:1], -1, 0
	s_cmp_lg_u64 s[0:1], 0
	s_addc_u32 s19, s19, s20
	s_mul_i32 s0, s15, s19
	s_mul_hi_u32 s1, s15, s21
	s_add_i32 s0, s1, s0
	s_mul_i32 s18, s18, s21
	s_add_i32 s0, s0, s18
	s_mul_i32 s15, s15, s21
	s_mul_hi_u32 s18, s19, s15
	s_mul_i32 s20, s19, s15
	s_mul_i32 s23, s21, s0
	s_mul_hi_u32 s15, s21, s15
	s_mul_hi_u32 s22, s21, s0
	s_add_u32 s15, s15, s23
	s_addc_u32 s22, 0, s22
	s_add_u32 s15, s15, s20
	s_mul_hi_u32 s1, s19, s0
	s_addc_u32 s15, s22, s18
	s_addc_u32 s1, s1, 0
	s_mul_i32 s0, s19, s0
	s_add_u32 s0, s15, s0
	s_addc_u32 s15, 0, s1
	s_add_u32 s18, s21, s0
	s_cselect_b64 s[0:1], -1, 0
	s_cmp_lg_u64 s[0:1], 0
	v_add_co_u32_e32 v2, vcc, v0, v7
	s_addc_u32 s15, s19, s15
	v_xor_b32_e32 v6, v2, v7
	v_mad_u64_u32 v[2:3], s[0:1], v6, s15, 0
	v_mul_hi_u32 v5, v6, s18
	v_addc_co_u32_e32 v4, vcc, v1, v7, vcc
	v_xor_b32_e32 v8, v4, v7
	v_add_co_u32_e32 v9, vcc, v5, v2
	v_addc_co_u32_e32 v10, vcc, 0, v3, vcc
	v_mad_u64_u32 v[2:3], s[0:1], v8, s18, 0
	v_mad_u64_u32 v[4:5], s[0:1], v8, s15, 0
	v_add_co_u32_e32 v2, vcc, v9, v2
	v_addc_co_u32_e32 v2, vcc, v10, v3, vcc
	v_addc_co_u32_e32 v3, vcc, 0, v5, vcc
	v_add_co_u32_e32 v4, vcc, v2, v4
	v_addc_co_u32_e32 v5, vcc, 0, v3, vcc
	v_mul_lo_u32 v9, s17, v4
	v_mul_lo_u32 v10, s16, v5
	v_mad_u64_u32 v[2:3], s[0:1], s16, v4, 0
	v_add3_u32 v3, v3, v10, v9
	v_sub_u32_e32 v9, v8, v3
	v_mov_b32_e32 v10, s17
	v_sub_co_u32_e32 v2, vcc, v6, v2
	v_subb_co_u32_e64 v6, s[0:1], v9, v10, vcc
	v_subrev_co_u32_e64 v9, s[0:1], s16, v2
	v_subbrev_co_u32_e64 v6, s[0:1], 0, v6, s[0:1]
	v_cmp_le_u32_e64 s[0:1], s17, v6
	v_cndmask_b32_e64 v10, 0, -1, s[0:1]
	v_cmp_le_u32_e64 s[0:1], s16, v9
	v_cndmask_b32_e64 v9, 0, -1, s[0:1]
	v_cmp_eq_u32_e64 s[0:1], s17, v6
	v_cndmask_b32_e64 v6, v10, v9, s[0:1]
	v_add_co_u32_e64 v9, s[0:1], 2, v4
	v_subb_co_u32_e32 v3, vcc, v8, v3, vcc
	v_addc_co_u32_e64 v10, s[0:1], 0, v5, s[0:1]
	v_cmp_le_u32_e32 vcc, s17, v3
	v_add_co_u32_e64 v11, s[0:1], 1, v4
	v_cndmask_b32_e64 v8, 0, -1, vcc
	v_cmp_le_u32_e32 vcc, s16, v2
	v_addc_co_u32_e64 v12, s[0:1], 0, v5, s[0:1]
	v_cndmask_b32_e64 v2, 0, -1, vcc
	v_cmp_eq_u32_e32 vcc, s17, v3
	v_cmp_ne_u32_e64 s[0:1], 0, v6
	v_cndmask_b32_e32 v2, v8, v2, vcc
	v_cndmask_b32_e64 v6, v12, v10, s[0:1]
	v_cmp_ne_u32_e32 vcc, 0, v2
	v_cndmask_b32_e64 v3, v11, v9, s[0:1]
	v_cndmask_b32_e32 v2, v5, v6, vcc
	v_cndmask_b32_e32 v3, v4, v3, vcc
	v_xor_b32_e32 v4, s14, v7
	v_xor_b32_e32 v5, v2, v4
	;; [unrolled: 1-line block ×3, first 2 shown]
	v_sub_co_u32_e32 v2, vcc, v2, v4
	v_subb_co_u32_e32 v3, vcc, v5, v4, vcc
.LBB10_3:
	s_andn2_saveexec_b64 s[0:1], s[12:13]
	s_cbranch_execz .LBB10_5
; %bb.4:
	v_cvt_f32_u32_e32 v2, s10
	s_sub_i32 s12, 0, s10
	v_rcp_iflag_f32_e32 v2, v2
	v_mul_f32_e32 v2, 0x4f7ffffe, v2
	v_cvt_u32_f32_e32 v2, v2
	v_mul_lo_u32 v3, s12, v2
	v_mul_hi_u32 v3, v2, v3
	v_add_u32_e32 v2, v2, v3
	v_mul_hi_u32 v2, v0, v2
	v_mul_lo_u32 v3, v2, s10
	v_add_u32_e32 v4, 1, v2
	v_sub_u32_e32 v3, v0, v3
	v_subrev_u32_e32 v5, s10, v3
	v_cmp_le_u32_e32 vcc, s10, v3
	v_cndmask_b32_e32 v3, v3, v5, vcc
	v_cndmask_b32_e32 v2, v2, v4, vcc
	v_add_u32_e32 v4, 1, v2
	v_cmp_le_u32_e32 vcc, s10, v3
	v_cndmask_b32_e32 v2, v2, v4, vcc
	v_mov_b32_e32 v3, 0
.LBB10_5:
	s_or_b64 exec, exec, s[0:1]
	v_or_b32_e32 v5, s3, v3
	v_mov_b32_e32 v4, 0
	v_cmp_ne_u64_e32 vcc, 0, v[4:5]
                                        ; implicit-def: $vgpr4_vgpr5
	s_and_saveexec_b64 s[0:1], vcc
	s_xor_b64 s[12:13], exec, s[0:1]
	s_cbranch_execz .LBB10_7
; %bb.6:
	s_ashr_i32 s0, s3, 31
	s_add_u32 s14, s2, s0
	s_mov_b32 s1, s0
	s_addc_u32 s15, s3, s0
	s_xor_b64 s[14:15], s[14:15], s[0:1]
	v_cvt_f32_u32_e32 v4, s14
	v_cvt_f32_u32_e32 v5, s15
	s_sub_u32 s3, 0, s14
	s_subb_u32 s16, 0, s15
	v_ashrrev_i32_e32 v6, 31, v3
	v_madmk_f32 v4, v5, 0x4f800000, v4
	v_rcp_f32_e32 v4, v4
	v_mul_f32_e32 v4, 0x5f7ffffc, v4
	v_mul_f32_e32 v5, 0x2f800000, v4
	v_trunc_f32_e32 v5, v5
	v_madmk_f32 v4, v5, 0xcf800000, v4
	v_cvt_u32_f32_e32 v5, v5
	v_cvt_u32_f32_e32 v4, v4
	v_readfirstlane_b32 s17, v5
	v_readfirstlane_b32 s0, v4
	s_mul_i32 s1, s3, s17
	s_mul_hi_u32 s19, s3, s0
	s_mul_i32 s18, s16, s0
	s_add_i32 s1, s19, s1
	s_add_i32 s1, s1, s18
	s_mul_i32 s20, s3, s0
	s_mul_i32 s19, s0, s1
	s_mul_hi_u32 s21, s0, s20
	s_mul_hi_u32 s18, s0, s1
	s_add_u32 s19, s21, s19
	s_addc_u32 s18, 0, s18
	s_mul_hi_u32 s22, s17, s20
	s_mul_i32 s20, s17, s20
	s_add_u32 s19, s19, s20
	s_mul_hi_u32 s21, s17, s1
	s_addc_u32 s18, s18, s22
	s_addc_u32 s19, s21, 0
	s_mul_i32 s1, s17, s1
	s_add_u32 s1, s18, s1
	s_addc_u32 s18, 0, s19
	s_add_u32 s19, s0, s1
	s_cselect_b64 s[0:1], -1, 0
	s_cmp_lg_u64 s[0:1], 0
	s_addc_u32 s17, s17, s18
	s_mul_i32 s0, s3, s17
	s_mul_hi_u32 s1, s3, s19
	s_add_i32 s0, s1, s0
	s_mul_i32 s16, s16, s19
	s_add_i32 s0, s0, s16
	s_mul_i32 s3, s3, s19
	s_mul_hi_u32 s16, s17, s3
	s_mul_i32 s18, s17, s3
	s_mul_i32 s21, s19, s0
	s_mul_hi_u32 s3, s19, s3
	s_mul_hi_u32 s20, s19, s0
	s_add_u32 s3, s3, s21
	s_addc_u32 s20, 0, s20
	s_add_u32 s3, s3, s18
	s_mul_hi_u32 s1, s17, s0
	s_addc_u32 s3, s20, s16
	s_addc_u32 s1, s1, 0
	s_mul_i32 s0, s17, s0
	s_add_u32 s0, s3, s0
	s_addc_u32 s3, 0, s1
	s_add_u32 s16, s19, s0
	s_cselect_b64 s[0:1], -1, 0
	s_cmp_lg_u64 s[0:1], 0
	v_add_co_u32_e32 v4, vcc, v2, v6
	s_addc_u32 s3, s17, s3
	v_xor_b32_e32 v10, v4, v6
	v_mad_u64_u32 v[4:5], s[0:1], v10, s3, 0
	v_mul_hi_u32 v9, v10, s16
	v_addc_co_u32_e32 v8, vcc, v3, v6, vcc
	v_xor_b32_e32 v11, v8, v6
	v_add_co_u32_e32 v12, vcc, v9, v4
	v_addc_co_u32_e32 v13, vcc, 0, v5, vcc
	v_mad_u64_u32 v[4:5], s[0:1], v11, s16, 0
	v_mad_u64_u32 v[8:9], s[0:1], v11, s3, 0
	v_add_co_u32_e32 v4, vcc, v12, v4
	v_addc_co_u32_e32 v4, vcc, v13, v5, vcc
	v_addc_co_u32_e32 v5, vcc, 0, v9, vcc
	v_add_co_u32_e32 v4, vcc, v4, v8
	v_addc_co_u32_e32 v5, vcc, 0, v5, vcc
	v_mul_lo_u32 v8, s15, v4
	v_mul_lo_u32 v9, s14, v5
	v_mad_u64_u32 v[4:5], s[0:1], s14, v4, 0
	v_add3_u32 v5, v5, v9, v8
	v_sub_u32_e32 v8, v11, v5
	v_mov_b32_e32 v9, s15
	v_sub_co_u32_e32 v4, vcc, v10, v4
	v_subb_co_u32_e64 v8, s[0:1], v8, v9, vcc
	v_subrev_co_u32_e64 v9, s[0:1], s14, v4
	v_subbrev_co_u32_e64 v8, s[0:1], 0, v8, s[0:1]
	v_cmp_le_u32_e64 s[0:1], s15, v8
	v_subb_co_u32_e32 v5, vcc, v11, v5, vcc
	v_cndmask_b32_e64 v10, 0, -1, s[0:1]
	v_cmp_le_u32_e64 s[0:1], s14, v9
	v_cmp_le_u32_e32 vcc, s15, v5
	v_cndmask_b32_e64 v12, 0, -1, s[0:1]
	v_cmp_eq_u32_e64 s[0:1], s15, v8
	v_cndmask_b32_e64 v11, 0, -1, vcc
	v_cmp_le_u32_e32 vcc, s14, v4
	v_cndmask_b32_e64 v8, v10, v12, s[0:1]
	v_cndmask_b32_e64 v12, 0, -1, vcc
	v_cmp_eq_u32_e32 vcc, s15, v5
	v_subrev_co_u32_e64 v10, s[0:1], s14, v9
	v_cndmask_b32_e32 v5, v11, v12, vcc
	v_cmp_ne_u32_e32 vcc, 0, v8
	v_cndmask_b32_e32 v8, v9, v10, vcc
	v_cmp_ne_u32_e32 vcc, 0, v5
	v_cndmask_b32_e32 v4, v4, v8, vcc
	v_xor_b32_e32 v4, v4, v6
	v_sub_co_u32_e32 v4, vcc, v4, v6
.LBB10_7:
	s_andn2_saveexec_b64 s[0:1], s[12:13]
	s_cbranch_execz .LBB10_9
; %bb.8:
	v_cvt_f32_u32_e32 v4, s2
	s_sub_i32 s3, 0, s2
	v_rcp_iflag_f32_e32 v4, v4
	v_mul_f32_e32 v4, 0x4f7ffffe, v4
	v_cvt_u32_f32_e32 v4, v4
	v_mul_lo_u32 v5, s3, v4
	v_mul_hi_u32 v5, v4, v5
	v_add_u32_e32 v4, v4, v5
	v_mul_hi_u32 v4, v2, v4
	v_mul_lo_u32 v4, v4, s2
	v_sub_u32_e32 v4, v2, v4
	v_subrev_u32_e32 v5, s2, v4
	v_cmp_le_u32_e32 vcc, s2, v4
	v_cndmask_b32_e32 v4, v4, v5, vcc
	v_subrev_u32_e32 v5, s2, v4
	v_cmp_le_u32_e32 vcc, s2, v4
	v_cndmask_b32_e32 v4, v4, v5, vcc
.LBB10_9:
	s_or_b64 exec, exec, s[0:1]
	v_or_b32_e32 v6, s9, v1
	v_mov_b32_e32 v5, 0
	v_cmp_ne_u64_e32 vcc, 0, v[5:6]
                                        ; implicit-def: $vgpr5_vgpr6
	s_and_saveexec_b64 s[0:1], vcc
	s_xor_b64 s[2:3], exec, s[0:1]
	s_cbranch_execz .LBB10_11
; %bb.10:
	s_ashr_i32 s12, s9, 31
	s_add_u32 s0, s6, s12
	s_mov_b32 s13, s12
	s_addc_u32 s1, s9, s12
	s_xor_b64 s[14:15], s[0:1], s[12:13]
	v_cvt_f32_u32_e32 v5, s14
	v_cvt_f32_u32_e32 v6, s15
	s_sub_u32 s9, 0, s14
	s_subb_u32 s13, 0, s15
	v_madmk_f32 v5, v6, 0x4f800000, v5
	v_rcp_f32_e32 v5, v5
	v_mul_f32_e32 v5, 0x5f7ffffc, v5
	v_mul_f32_e32 v6, 0x2f800000, v5
	v_trunc_f32_e32 v6, v6
	v_madmk_f32 v5, v6, 0xcf800000, v5
	v_cvt_u32_f32_e32 v6, v6
	v_cvt_u32_f32_e32 v5, v5
	v_readfirstlane_b32 s16, v6
	v_readfirstlane_b32 s0, v5
	s_mul_i32 s1, s9, s16
	s_mul_hi_u32 s18, s9, s0
	s_mul_i32 s17, s13, s0
	s_add_i32 s1, s18, s1
	s_add_i32 s1, s1, s17
	s_mul_i32 s19, s9, s0
	s_mul_i32 s18, s0, s1
	s_mul_hi_u32 s20, s0, s19
	s_mul_hi_u32 s17, s0, s1
	s_add_u32 s18, s20, s18
	s_addc_u32 s17, 0, s17
	s_mul_hi_u32 s21, s16, s19
	s_mul_i32 s19, s16, s19
	s_add_u32 s18, s18, s19
	s_mul_hi_u32 s20, s16, s1
	s_addc_u32 s17, s17, s21
	s_addc_u32 s18, s20, 0
	s_mul_i32 s1, s16, s1
	s_add_u32 s1, s17, s1
	s_addc_u32 s17, 0, s18
	s_add_u32 s18, s0, s1
	s_cselect_b64 s[0:1], -1, 0
	s_cmp_lg_u64 s[0:1], 0
	s_addc_u32 s16, s16, s17
	s_mul_i32 s0, s9, s16
	s_mul_hi_u32 s1, s9, s18
	s_add_i32 s0, s1, s0
	s_mul_i32 s13, s13, s18
	s_add_i32 s0, s0, s13
	s_mul_i32 s9, s9, s18
	s_mul_hi_u32 s13, s16, s9
	s_mul_i32 s17, s16, s9
	s_mul_i32 s20, s18, s0
	s_mul_hi_u32 s9, s18, s9
	s_mul_hi_u32 s19, s18, s0
	s_add_u32 s9, s9, s20
	s_addc_u32 s19, 0, s19
	s_add_u32 s9, s9, s17
	s_mul_hi_u32 s1, s16, s0
	s_addc_u32 s9, s19, s13
	s_addc_u32 s1, s1, 0
	s_mul_i32 s0, s16, s0
	s_add_u32 s0, s9, s0
	s_addc_u32 s9, 0, s1
	s_add_u32 s13, s18, s0
	s_cselect_b64 s[0:1], -1, 0
	s_cmp_lg_u64 s[0:1], 0
	v_add_co_u32_e32 v5, vcc, v0, v7
	s_addc_u32 s9, s16, s9
	v_xor_b32_e32 v10, v5, v7
	v_mad_u64_u32 v[5:6], s[0:1], v10, s9, 0
	v_mul_hi_u32 v9, v10, s13
	v_addc_co_u32_e32 v8, vcc, v1, v7, vcc
	v_xor_b32_e32 v11, v8, v7
	v_add_co_u32_e32 v12, vcc, v9, v5
	v_addc_co_u32_e32 v13, vcc, 0, v6, vcc
	v_mad_u64_u32 v[5:6], s[0:1], v11, s13, 0
	v_mad_u64_u32 v[8:9], s[0:1], v11, s9, 0
	v_add_co_u32_e32 v5, vcc, v12, v5
	v_addc_co_u32_e32 v5, vcc, v13, v6, vcc
	v_addc_co_u32_e32 v6, vcc, 0, v9, vcc
	v_add_co_u32_e32 v8, vcc, v5, v8
	v_addc_co_u32_e32 v5, vcc, 0, v6, vcc
	v_mul_lo_u32 v9, s15, v8
	v_mul_lo_u32 v12, s14, v5
	v_mad_u64_u32 v[5:6], s[0:1], s14, v8, 0
	v_add3_u32 v6, v6, v12, v9
	v_sub_u32_e32 v9, v11, v6
	v_mov_b32_e32 v12, s15
	v_sub_co_u32_e32 v5, vcc, v10, v5
	v_subb_co_u32_e64 v9, s[0:1], v9, v12, vcc
	v_subrev_co_u32_e64 v10, s[0:1], s14, v5
	v_subbrev_co_u32_e64 v9, s[0:1], 0, v9, s[0:1]
	v_cmp_le_u32_e64 s[0:1], s15, v9
	v_subb_co_u32_e32 v6, vcc, v11, v6, vcc
	v_cndmask_b32_e64 v12, 0, -1, s[0:1]
	v_cmp_le_u32_e64 s[0:1], s14, v10
	v_cmp_le_u32_e32 vcc, s15, v6
	v_cndmask_b32_e64 v10, 0, -1, s[0:1]
	v_cmp_eq_u32_e64 s[0:1], s15, v9
	v_cndmask_b32_e64 v11, 0, -1, vcc
	v_cmp_le_u32_e32 vcc, s14, v5
	v_cndmask_b32_e64 v9, v12, v10, s[0:1]
	v_cndmask_b32_e64 v5, 0, -1, vcc
	v_cmp_eq_u32_e32 vcc, s15, v6
	v_add_co_u32_e64 v10, s[0:1], 2, v8
	v_add_co_u32_e64 v12, s[0:1], 1, v8
	v_cndmask_b32_e32 v5, v11, v5, vcc
	v_cmp_ne_u32_e32 vcc, 0, v9
	v_cndmask_b32_e32 v6, v12, v10, vcc
	v_cmp_ne_u32_e32 vcc, 0, v5
	v_cndmask_b32_e32 v5, v8, v6, vcc
	v_xor_b32_e32 v6, s12, v7
	v_xor_b32_e32 v5, v5, v6
	v_sub_co_u32_e32 v5, vcc, v5, v6
.LBB10_11:
	s_andn2_saveexec_b64 s[0:1], s[2:3]
	s_cbranch_execz .LBB10_13
; %bb.12:
	v_cvt_f32_u32_e32 v5, s6
	s_sub_i32 s2, 0, s6
	v_rcp_iflag_f32_e32 v5, v5
	v_mul_f32_e32 v5, 0x4f7ffffe, v5
	v_cvt_u32_f32_e32 v5, v5
	v_mul_lo_u32 v6, s2, v5
	v_mul_hi_u32 v6, v5, v6
	v_add_u32_e32 v5, v5, v6
	v_mul_hi_u32 v5, v0, v5
	v_mul_lo_u32 v6, v5, s6
	v_add_u32_e32 v7, 1, v5
	v_sub_u32_e32 v6, v0, v6
	v_subrev_u32_e32 v8, s6, v6
	v_cmp_le_u32_e32 vcc, s6, v6
	v_cndmask_b32_e32 v6, v6, v8, vcc
	v_cndmask_b32_e32 v5, v5, v7, vcc
	v_add_u32_e32 v7, 1, v5
	v_cmp_le_u32_e32 vcc, s6, v6
	v_cndmask_b32_e32 v5, v5, v7, vcc
.LBB10_13:
	s_or_b64 exec, exec, s[0:1]
	v_mul_lo_u32 v6, v3, s10
	v_mul_lo_u32 v7, v2, s11
	v_mad_u64_u32 v[2:3], s[0:1], v2, s10, 0
	s_load_dwordx4 s[0:3], s[4:5], 0xb0
	s_load_dword s6, s[4:5], 0xc0
	s_load_dwordx2 s[34:35], s[4:5], 0xa8
	v_add3_u32 v3, v3, v7, v6
	v_sub_co_u32_e32 v6, vcc, v0, v2
	s_waitcnt lgkmcnt(0)
	s_add_i32 s33, s6, s8
	s_load_dwordx16 s[8:23], s[4:5], 0x18
	v_subb_co_u32_e32 v7, vcc, v1, v3, vcc
	s_add_i32 s36, s3, s7
	s_sub_i32 s3, 0, s2
	s_sub_i32 s6, 0, s1
	s_max_i32 s25, s2, 0
	s_waitcnt lgkmcnt(0)
	s_max_i32 s9, s1, 0
	v_max_i32_e32 v0, s2, v6
	s_add_i32 s2, s2, s12
	v_max_i32_e32 v1, s1, v4
	s_add_i32 s1, s1, s10
	s_max_i32 s3, s3, 0
	s_max_i32 s24, s6, 0
	s_add_i32 s2, s2, -1
	s_add_i32 s1, s1, -1
	v_min_i32_e32 v0, s2, v0
	s_sub_i32 s2, s3, s25
	v_min_i32_e32 v1, s1, v1
	s_sub_i32 s1, s24, s9
	s_load_dwordx8 s[24:31], s[4:5], 0x88
	s_sub_i32 s6, 0, s0
	s_max_i32 s11, s0, 0
	v_add_u32_e32 v8, s1, v1
	v_max_i32_e32 v1, s0, v5
	s_add_i32 s0, s0, s8
	s_max_i32 s37, s6, 0
	s_add_i32 s0, s0, -1
	v_min_i32_e32 v1, s0, v1
	s_sub_i32 s0, s37, s11
	v_add_u32_e32 v9, s0, v1
	s_ashr_i32 s8, s33, 31
	s_load_dwordx2 s[0:1], s[4:5], 0x58
	v_add_u32_e32 v0, s2, v0
	s_waitcnt lgkmcnt(0)
	s_mul_i32 s2, s24, s8
	s_mul_hi_u32 s3, s24, s33
	s_add_i32 s2, s3, s2
	s_mul_i32 s3, s25, s33
	s_add_i32 s3, s2, s3
	s_mul_i32 s2, s24, s33
	s_lshl_b64 s[2:3], s[2:3], 1
	s_load_dwordx2 s[6:7], s[4:5], 0x0
	s_add_u32 s4, s0, s2
	s_addc_u32 s5, s1, s3
	s_ashr_i32 s9, s36, 31
	s_mul_i32 s0, s26, s9
	s_mul_hi_u32 s1, s26, s36
	v_ashrrev_i32_e32 v1, 31, v5
	s_add_i32 s0, s1, s0
	s_mul_i32 s1, s27, s36
	v_mul_lo_u32 v3, s29, v5
	v_mul_lo_u32 v10, s28, v1
	v_mad_u64_u32 v[1:2], s[2:3], s28, v5, 0
	s_add_i32 s1, s0, s1
	s_mul_i32 s0, s26, s36
	s_lshl_b64 s[0:1], s[0:1], 1
	s_add_u32 s2, s4, s0
	s_addc_u32 s0, s5, s1
	v_add3_u32 v2, v2, v10, v3
	v_ashrrev_i32_e32 v3, 31, v4
	v_mov_b32_e32 v5, s0
	v_mul_lo_u32 v10, s31, v4
	v_mul_lo_u32 v11, s30, v3
	v_mad_u64_u32 v[3:4], s[0:1], s30, v4, 0
	v_lshlrev_b64 v[1:2], 1, v[1:2]
	v_mul_lo_u32 v7, s34, v7
	v_add_co_u32_e32 v12, vcc, s2, v1
	v_add3_u32 v4, v4, v11, v10
	v_addc_co_u32_e32 v5, vcc, v5, v2, vcc
	v_lshlrev_b64 v[1:2], 1, v[3:4]
	v_mul_lo_u32 v10, s35, v6
	v_mad_u64_u32 v[3:4], s[0:1], s34, v6, 0
	v_add_co_u32_e32 v6, vcc, v12, v1
	v_add3_u32 v4, v4, v7, v10
	s_mul_i32 s0, s14, s8
	s_mul_hi_u32 s1, s14, s33
	v_addc_co_u32_e32 v5, vcc, v5, v2, vcc
	v_lshlrev_b64 v[1:2], 1, v[3:4]
	s_add_i32 s0, s1, s0
	s_mul_i32 s1, s15, s33
	s_add_i32 s1, s0, s1
	s_mul_i32 s0, s14, s33
	v_add_co_u32_e32 v1, vcc, v6, v1
	s_lshl_b64 s[0:1], s[0:1], 1
	v_addc_co_u32_e32 v2, vcc, v5, v2, vcc
	s_waitcnt lgkmcnt(0)
	s_add_u32 s4, s6, s0
	global_load_ushort v4, v[1:2], off
	s_addc_u32 s5, s7, s1
	s_mul_i32 s0, s16, s9
	s_mul_hi_u32 s1, s16, s36
	v_ashrrev_i32_e32 v1, 31, v9
	s_add_i32 s0, s1, s0
	s_mul_i32 s1, s17, s36
	v_mul_lo_u32 v3, s18, v1
	v_mul_lo_u32 v5, s19, v9
	v_mad_u64_u32 v[1:2], s[2:3], s18, v9, 0
	s_add_i32 s1, s0, s1
	s_mul_i32 s0, s16, s36
	s_lshl_b64 s[0:1], s[0:1], 1
	s_add_u32 s2, s4, s0
	s_addc_u32 s0, s5, s1
	v_add3_u32 v2, v2, v3, v5
	v_ashrrev_i32_e32 v5, 31, v8
	v_mov_b32_e32 v3, s0
	v_mul_lo_u32 v7, s20, v5
	v_mul_lo_u32 v9, s21, v8
	v_mad_u64_u32 v[5:6], s[0:1], s20, v8, 0
	v_lshlrev_b64 v[1:2], 1, v[1:2]
	s_mov_b64 s[4:5], 0
	v_add_co_u32_e32 v8, vcc, s2, v1
	v_add3_u32 v6, v6, v7, v9
	v_addc_co_u32_e32 v3, vcc, v3, v2, vcc
	v_lshlrev_b64 v[1:2], 1, v[5:6]
	v_ashrrev_i32_e32 v5, 31, v0
	v_mul_lo_u32 v7, s22, v5
	v_mul_lo_u32 v9, s23, v0
	v_mad_u64_u32 v[5:6], s[0:1], s22, v0, 0
	v_add_co_u32_e32 v8, vcc, v8, v1
	v_add3_u32 v6, v6, v7, v9
	v_lshlrev_b64 v[0:1], 1, v[5:6]
	v_addc_co_u32_e32 v2, vcc, v3, v2, vcc
	v_add_co_u32_e32 v0, vcc, v8, v0
	v_addc_co_u32_e32 v1, vcc, v2, v1, vcc
	v_and_b32_e32 v5, 2, v0
	v_sub_co_u32_e32 v2, vcc, 0, v5
	v_subb_co_u32_e64 v3, s[0:1], 0, 0, vcc
	v_add_co_u32_e32 v0, vcc, v0, v2
	v_addc_co_u32_e32 v1, vcc, v1, v3, vcc
	global_load_dword v3, v[0:1], off
	v_mov_b32_e32 v6, 0
	v_cmp_eq_u64_e32 vcc, 0, v[5:6]
	v_cmp_ne_u32_e64 s[0:1], 0, v5
	s_mov_b32 s6, 0xffff0000
	s_branch .LBB10_15
.LBB10_14:                              ;   in Loop: Header=BB10_15 Depth=1
	s_or_b64 exec, exec, s[2:3]
	global_atomic_cmpswap v2, v[0:1], v[2:3], off glc
	s_waitcnt vmcnt(0)
	v_cmp_eq_u32_e64 s[2:3], v3, v2
	s_or_b64 s[4:5], s[2:3], s[4:5]
	v_mov_b32_e32 v3, v2
	s_andn2_b64 exec, exec, s[4:5]
	s_cbranch_execz .LBB10_19
.LBB10_15:                              ; =>This Inner Loop Header: Depth=1
	s_waitcnt vmcnt(0)
	v_cndmask_b32_sdwa v2, v3, v3, vcc dst_sel:DWORD dst_unused:UNUSED_PAD src0_sel:WORD_1 src1_sel:DWORD
	v_add_f16_e32 v5, v4, v2
	s_and_saveexec_b64 s[2:3], s[0:1]
	s_xor_b64 s[2:3], exec, s[2:3]
; %bb.16:                               ;   in Loop: Header=BB10_15 Depth=1
	v_and_b32_e32 v2, 0xffff, v3
	v_lshl_or_b32 v2, v5, 16, v2
                                        ; implicit-def: $vgpr5
; %bb.17:                               ;   in Loop: Header=BB10_15 Depth=1
	s_andn2_saveexec_b64 s[2:3], s[2:3]
	s_cbranch_execz .LBB10_14
; %bb.18:                               ;   in Loop: Header=BB10_15 Depth=1
	v_and_or_b32 v2, v3, s6, v5
	s_branch .LBB10_14
.LBB10_19:
	s_endpgm
	.section	.rodata,"a",@progbits
	.p2align	6, 0x0
	.amdhsa_kernel _ZN2at6native12_GLOBAL__N_131replication_pad_backward_kernelIN3c104HalfEEEvN5torch10headeronly6detail27GenericPackedTensorAccessorINS7_14TensorAccessorINS3_8ArrayRefIlEET_Lm4ENS6_16DefaultPtrTraitsElEENS_6detail16IndexBoundsCheckILm5ElEESC_Lm5ESD_lEENS8_INS9_ISB_KSC_Lm4ESD_lEESH_SJ_Lm5ESD_lEEiiiii
		.amdhsa_group_segment_fixed_size 0
		.amdhsa_private_segment_fixed_size 0
		.amdhsa_kernarg_size 456
		.amdhsa_user_sgpr_count 6
		.amdhsa_user_sgpr_private_segment_buffer 1
		.amdhsa_user_sgpr_dispatch_ptr 0
		.amdhsa_user_sgpr_queue_ptr 0
		.amdhsa_user_sgpr_kernarg_segment_ptr 1
		.amdhsa_user_sgpr_dispatch_id 0
		.amdhsa_user_sgpr_flat_scratch_init 0
		.amdhsa_user_sgpr_private_segment_size 0
		.amdhsa_uses_dynamic_stack 0
		.amdhsa_system_sgpr_private_segment_wavefront_offset 0
		.amdhsa_system_sgpr_workgroup_id_x 1
		.amdhsa_system_sgpr_workgroup_id_y 1
		.amdhsa_system_sgpr_workgroup_id_z 1
		.amdhsa_system_sgpr_workgroup_info 0
		.amdhsa_system_vgpr_workitem_id 0
		.amdhsa_next_free_vgpr 14
		.amdhsa_next_free_sgpr 38
		.amdhsa_reserve_vcc 1
		.amdhsa_reserve_flat_scratch 0
		.amdhsa_float_round_mode_32 0
		.amdhsa_float_round_mode_16_64 0
		.amdhsa_float_denorm_mode_32 3
		.amdhsa_float_denorm_mode_16_64 3
		.amdhsa_dx10_clamp 1
		.amdhsa_ieee_mode 1
		.amdhsa_fp16_overflow 0
		.amdhsa_exception_fp_ieee_invalid_op 0
		.amdhsa_exception_fp_denorm_src 0
		.amdhsa_exception_fp_ieee_div_zero 0
		.amdhsa_exception_fp_ieee_overflow 0
		.amdhsa_exception_fp_ieee_underflow 0
		.amdhsa_exception_fp_ieee_inexact 0
		.amdhsa_exception_int_div_zero 0
	.end_amdhsa_kernel
	.section	.text._ZN2at6native12_GLOBAL__N_131replication_pad_backward_kernelIN3c104HalfEEEvN5torch10headeronly6detail27GenericPackedTensorAccessorINS7_14TensorAccessorINS3_8ArrayRefIlEET_Lm4ENS6_16DefaultPtrTraitsElEENS_6detail16IndexBoundsCheckILm5ElEESC_Lm5ESD_lEENS8_INS9_ISB_KSC_Lm4ESD_lEESH_SJ_Lm5ESD_lEEiiiii,"axG",@progbits,_ZN2at6native12_GLOBAL__N_131replication_pad_backward_kernelIN3c104HalfEEEvN5torch10headeronly6detail27GenericPackedTensorAccessorINS7_14TensorAccessorINS3_8ArrayRefIlEET_Lm4ENS6_16DefaultPtrTraitsElEENS_6detail16IndexBoundsCheckILm5ElEESC_Lm5ESD_lEENS8_INS9_ISB_KSC_Lm4ESD_lEESH_SJ_Lm5ESD_lEEiiiii,comdat
.Lfunc_end10:
	.size	_ZN2at6native12_GLOBAL__N_131replication_pad_backward_kernelIN3c104HalfEEEvN5torch10headeronly6detail27GenericPackedTensorAccessorINS7_14TensorAccessorINS3_8ArrayRefIlEET_Lm4ENS6_16DefaultPtrTraitsElEENS_6detail16IndexBoundsCheckILm5ElEESC_Lm5ESD_lEENS8_INS9_ISB_KSC_Lm4ESD_lEESH_SJ_Lm5ESD_lEEiiiii, .Lfunc_end10-_ZN2at6native12_GLOBAL__N_131replication_pad_backward_kernelIN3c104HalfEEEvN5torch10headeronly6detail27GenericPackedTensorAccessorINS7_14TensorAccessorINS3_8ArrayRefIlEET_Lm4ENS6_16DefaultPtrTraitsElEENS_6detail16IndexBoundsCheckILm5ElEESC_Lm5ESD_lEENS8_INS9_ISB_KSC_Lm4ESD_lEESH_SJ_Lm5ESD_lEEiiiii
                                        ; -- End function
	.set _ZN2at6native12_GLOBAL__N_131replication_pad_backward_kernelIN3c104HalfEEEvN5torch10headeronly6detail27GenericPackedTensorAccessorINS7_14TensorAccessorINS3_8ArrayRefIlEET_Lm4ENS6_16DefaultPtrTraitsElEENS_6detail16IndexBoundsCheckILm5ElEESC_Lm5ESD_lEENS8_INS9_ISB_KSC_Lm4ESD_lEESH_SJ_Lm5ESD_lEEiiiii.num_vgpr, 14
	.set _ZN2at6native12_GLOBAL__N_131replication_pad_backward_kernelIN3c104HalfEEEvN5torch10headeronly6detail27GenericPackedTensorAccessorINS7_14TensorAccessorINS3_8ArrayRefIlEET_Lm4ENS6_16DefaultPtrTraitsElEENS_6detail16IndexBoundsCheckILm5ElEESC_Lm5ESD_lEENS8_INS9_ISB_KSC_Lm4ESD_lEESH_SJ_Lm5ESD_lEEiiiii.num_agpr, 0
	.set _ZN2at6native12_GLOBAL__N_131replication_pad_backward_kernelIN3c104HalfEEEvN5torch10headeronly6detail27GenericPackedTensorAccessorINS7_14TensorAccessorINS3_8ArrayRefIlEET_Lm4ENS6_16DefaultPtrTraitsElEENS_6detail16IndexBoundsCheckILm5ElEESC_Lm5ESD_lEENS8_INS9_ISB_KSC_Lm4ESD_lEESH_SJ_Lm5ESD_lEEiiiii.numbered_sgpr, 38
	.set _ZN2at6native12_GLOBAL__N_131replication_pad_backward_kernelIN3c104HalfEEEvN5torch10headeronly6detail27GenericPackedTensorAccessorINS7_14TensorAccessorINS3_8ArrayRefIlEET_Lm4ENS6_16DefaultPtrTraitsElEENS_6detail16IndexBoundsCheckILm5ElEESC_Lm5ESD_lEENS8_INS9_ISB_KSC_Lm4ESD_lEESH_SJ_Lm5ESD_lEEiiiii.num_named_barrier, 0
	.set _ZN2at6native12_GLOBAL__N_131replication_pad_backward_kernelIN3c104HalfEEEvN5torch10headeronly6detail27GenericPackedTensorAccessorINS7_14TensorAccessorINS3_8ArrayRefIlEET_Lm4ENS6_16DefaultPtrTraitsElEENS_6detail16IndexBoundsCheckILm5ElEESC_Lm5ESD_lEENS8_INS9_ISB_KSC_Lm4ESD_lEESH_SJ_Lm5ESD_lEEiiiii.private_seg_size, 0
	.set _ZN2at6native12_GLOBAL__N_131replication_pad_backward_kernelIN3c104HalfEEEvN5torch10headeronly6detail27GenericPackedTensorAccessorINS7_14TensorAccessorINS3_8ArrayRefIlEET_Lm4ENS6_16DefaultPtrTraitsElEENS_6detail16IndexBoundsCheckILm5ElEESC_Lm5ESD_lEENS8_INS9_ISB_KSC_Lm4ESD_lEESH_SJ_Lm5ESD_lEEiiiii.uses_vcc, 1
	.set _ZN2at6native12_GLOBAL__N_131replication_pad_backward_kernelIN3c104HalfEEEvN5torch10headeronly6detail27GenericPackedTensorAccessorINS7_14TensorAccessorINS3_8ArrayRefIlEET_Lm4ENS6_16DefaultPtrTraitsElEENS_6detail16IndexBoundsCheckILm5ElEESC_Lm5ESD_lEENS8_INS9_ISB_KSC_Lm4ESD_lEESH_SJ_Lm5ESD_lEEiiiii.uses_flat_scratch, 0
	.set _ZN2at6native12_GLOBAL__N_131replication_pad_backward_kernelIN3c104HalfEEEvN5torch10headeronly6detail27GenericPackedTensorAccessorINS7_14TensorAccessorINS3_8ArrayRefIlEET_Lm4ENS6_16DefaultPtrTraitsElEENS_6detail16IndexBoundsCheckILm5ElEESC_Lm5ESD_lEENS8_INS9_ISB_KSC_Lm4ESD_lEESH_SJ_Lm5ESD_lEEiiiii.has_dyn_sized_stack, 0
	.set _ZN2at6native12_GLOBAL__N_131replication_pad_backward_kernelIN3c104HalfEEEvN5torch10headeronly6detail27GenericPackedTensorAccessorINS7_14TensorAccessorINS3_8ArrayRefIlEET_Lm4ENS6_16DefaultPtrTraitsElEENS_6detail16IndexBoundsCheckILm5ElEESC_Lm5ESD_lEENS8_INS9_ISB_KSC_Lm4ESD_lEESH_SJ_Lm5ESD_lEEiiiii.has_recursion, 0
	.set _ZN2at6native12_GLOBAL__N_131replication_pad_backward_kernelIN3c104HalfEEEvN5torch10headeronly6detail27GenericPackedTensorAccessorINS7_14TensorAccessorINS3_8ArrayRefIlEET_Lm4ENS6_16DefaultPtrTraitsElEENS_6detail16IndexBoundsCheckILm5ElEESC_Lm5ESD_lEENS8_INS9_ISB_KSC_Lm4ESD_lEESH_SJ_Lm5ESD_lEEiiiii.has_indirect_call, 0
	.section	.AMDGPU.csdata,"",@progbits
; Kernel info:
; codeLenInByte = 3104
; TotalNumSgprs: 42
; NumVgprs: 14
; ScratchSize: 0
; MemoryBound: 0
; FloatMode: 240
; IeeeMode: 1
; LDSByteSize: 0 bytes/workgroup (compile time only)
; SGPRBlocks: 5
; VGPRBlocks: 3
; NumSGPRsForWavesPerEU: 42
; NumVGPRsForWavesPerEU: 14
; Occupancy: 10
; WaveLimiterHint : 1
; COMPUTE_PGM_RSRC2:SCRATCH_EN: 0
; COMPUTE_PGM_RSRC2:USER_SGPR: 6
; COMPUTE_PGM_RSRC2:TRAP_HANDLER: 0
; COMPUTE_PGM_RSRC2:TGID_X_EN: 1
; COMPUTE_PGM_RSRC2:TGID_Y_EN: 1
; COMPUTE_PGM_RSRC2:TGID_Z_EN: 1
; COMPUTE_PGM_RSRC2:TIDIG_COMP_CNT: 0
	.section	.text._ZN2at6native12_GLOBAL__N_131replication_pad_backward_kernelIN3c108BFloat16EEEvN5torch10headeronly6detail27GenericPackedTensorAccessorINS7_14TensorAccessorINS3_8ArrayRefIlEET_Lm4ENS6_16DefaultPtrTraitsElEENS_6detail16IndexBoundsCheckILm5ElEESC_Lm5ESD_lEENS8_INS9_ISB_KSC_Lm4ESD_lEESH_SJ_Lm5ESD_lEEiiiii,"axG",@progbits,_ZN2at6native12_GLOBAL__N_131replication_pad_backward_kernelIN3c108BFloat16EEEvN5torch10headeronly6detail27GenericPackedTensorAccessorINS7_14TensorAccessorINS3_8ArrayRefIlEET_Lm4ENS6_16DefaultPtrTraitsElEENS_6detail16IndexBoundsCheckILm5ElEESC_Lm5ESD_lEENS8_INS9_ISB_KSC_Lm4ESD_lEESH_SJ_Lm5ESD_lEEiiiii,comdat
	.globl	_ZN2at6native12_GLOBAL__N_131replication_pad_backward_kernelIN3c108BFloat16EEEvN5torch10headeronly6detail27GenericPackedTensorAccessorINS7_14TensorAccessorINS3_8ArrayRefIlEET_Lm4ENS6_16DefaultPtrTraitsElEENS_6detail16IndexBoundsCheckILm5ElEESC_Lm5ESD_lEENS8_INS9_ISB_KSC_Lm4ESD_lEESH_SJ_Lm5ESD_lEEiiiii ; -- Begin function _ZN2at6native12_GLOBAL__N_131replication_pad_backward_kernelIN3c108BFloat16EEEvN5torch10headeronly6detail27GenericPackedTensorAccessorINS7_14TensorAccessorINS3_8ArrayRefIlEET_Lm4ENS6_16DefaultPtrTraitsElEENS_6detail16IndexBoundsCheckILm5ElEESC_Lm5ESD_lEENS8_INS9_ISB_KSC_Lm4ESD_lEESH_SJ_Lm5ESD_lEEiiiii
	.p2align	8
	.type	_ZN2at6native12_GLOBAL__N_131replication_pad_backward_kernelIN3c108BFloat16EEEvN5torch10headeronly6detail27GenericPackedTensorAccessorINS7_14TensorAccessorINS3_8ArrayRefIlEET_Lm4ENS6_16DefaultPtrTraitsElEENS_6detail16IndexBoundsCheckILm5ElEESC_Lm5ESD_lEENS8_INS9_ISB_KSC_Lm4ESD_lEESH_SJ_Lm5ESD_lEEiiiii,@function
_ZN2at6native12_GLOBAL__N_131replication_pad_backward_kernelIN3c108BFloat16EEEvN5torch10headeronly6detail27GenericPackedTensorAccessorINS7_14TensorAccessorINS3_8ArrayRefIlEET_Lm4ENS6_16DefaultPtrTraitsElEENS_6detail16IndexBoundsCheckILm5ElEESC_Lm5ESD_lEENS8_INS9_ISB_KSC_Lm4ESD_lEESH_SJ_Lm5ESD_lEEiiiii: ; @_ZN2at6native12_GLOBAL__N_131replication_pad_backward_kernelIN3c108BFloat16EEEvN5torch10headeronly6detail27GenericPackedTensorAccessorINS7_14TensorAccessorINS3_8ArrayRefIlEET_Lm4ENS6_16DefaultPtrTraitsElEENS_6detail16IndexBoundsCheckILm5ElEESC_Lm5ESD_lEENS8_INS9_ISB_KSC_Lm4ESD_lEESH_SJ_Lm5ESD_lEEiiiii
; %bb.0:
	s_load_dword s9, s[4:5], 0xd4
	s_load_dwordx4 s[0:3], s[4:5], 0x70
	s_load_dwordx2 s[10:11], s[4:5], 0x80
	s_waitcnt lgkmcnt(0)
	s_and_b32 s9, s9, 0xffff
	s_mul_i32 s6, s6, s9
	v_add_u32_e32 v0, s6, v0
	s_mul_i32 s6, s10, s3
	s_mul_hi_u32 s9, s10, s2
	s_add_i32 s9, s9, s6
	s_mul_i32 s6, s11, s2
	s_add_i32 s9, s9, s6
	s_mul_i32 s6, s10, s2
	s_mul_i32 s1, s6, s1
	s_mul_hi_u32 s12, s6, s0
	s_add_i32 s1, s12, s1
	s_mul_i32 s12, s9, s0
	v_ashrrev_i32_e32 v1, 31, v0
	s_add_i32 s1, s1, s12
	s_mul_i32 s0, s6, s0
	v_cmp_gt_i64_e32 vcc, s[0:1], v[0:1]
	s_and_saveexec_b64 s[0:1], vcc
	s_cbranch_execz .LBB11_15
; %bb.1:
	v_or_b32_e32 v3, s11, v1
	v_mov_b32_e32 v2, 0
	v_cmp_ne_u64_e32 vcc, 0, v[2:3]
	v_ashrrev_i32_e32 v7, 31, v1
                                        ; implicit-def: $vgpr2_vgpr3
	s_and_saveexec_b64 s[0:1], vcc
	s_xor_b64 s[12:13], exec, s[0:1]
	s_cbranch_execz .LBB11_3
; %bb.2:
	s_ashr_i32 s14, s11, 31
	s_add_u32 s0, s10, s14
	s_mov_b32 s15, s14
	s_addc_u32 s1, s11, s14
	s_xor_b64 s[16:17], s[0:1], s[14:15]
	v_cvt_f32_u32_e32 v2, s16
	v_cvt_f32_u32_e32 v3, s17
	s_sub_u32 s15, 0, s16
	s_subb_u32 s18, 0, s17
	v_madmk_f32 v2, v3, 0x4f800000, v2
	v_rcp_f32_e32 v2, v2
	v_mul_f32_e32 v2, 0x5f7ffffc, v2
	v_mul_f32_e32 v3, 0x2f800000, v2
	v_trunc_f32_e32 v3, v3
	v_madmk_f32 v2, v3, 0xcf800000, v2
	v_cvt_u32_f32_e32 v3, v3
	v_cvt_u32_f32_e32 v2, v2
	v_readfirstlane_b32 s19, v3
	v_readfirstlane_b32 s0, v2
	s_mul_i32 s1, s15, s19
	s_mul_hi_u32 s21, s15, s0
	s_mul_i32 s20, s18, s0
	s_add_i32 s1, s21, s1
	s_add_i32 s1, s1, s20
	s_mul_i32 s22, s15, s0
	s_mul_i32 s21, s0, s1
	s_mul_hi_u32 s23, s0, s22
	s_mul_hi_u32 s20, s0, s1
	s_add_u32 s21, s23, s21
	s_addc_u32 s20, 0, s20
	s_mul_hi_u32 s24, s19, s22
	s_mul_i32 s22, s19, s22
	s_add_u32 s21, s21, s22
	s_mul_hi_u32 s23, s19, s1
	s_addc_u32 s20, s20, s24
	s_addc_u32 s21, s23, 0
	s_mul_i32 s1, s19, s1
	s_add_u32 s1, s20, s1
	s_addc_u32 s20, 0, s21
	s_add_u32 s21, s0, s1
	s_cselect_b64 s[0:1], -1, 0
	s_cmp_lg_u64 s[0:1], 0
	s_addc_u32 s19, s19, s20
	s_mul_i32 s0, s15, s19
	s_mul_hi_u32 s1, s15, s21
	s_add_i32 s0, s1, s0
	s_mul_i32 s18, s18, s21
	s_add_i32 s0, s0, s18
	s_mul_i32 s15, s15, s21
	s_mul_hi_u32 s18, s19, s15
	s_mul_i32 s20, s19, s15
	s_mul_i32 s23, s21, s0
	s_mul_hi_u32 s15, s21, s15
	s_mul_hi_u32 s22, s21, s0
	s_add_u32 s15, s15, s23
	s_addc_u32 s22, 0, s22
	s_add_u32 s15, s15, s20
	s_mul_hi_u32 s1, s19, s0
	s_addc_u32 s15, s22, s18
	s_addc_u32 s1, s1, 0
	s_mul_i32 s0, s19, s0
	s_add_u32 s0, s15, s0
	s_addc_u32 s15, 0, s1
	s_add_u32 s18, s21, s0
	s_cselect_b64 s[0:1], -1, 0
	s_cmp_lg_u64 s[0:1], 0
	v_add_co_u32_e32 v2, vcc, v0, v7
	s_addc_u32 s15, s19, s15
	v_xor_b32_e32 v6, v2, v7
	v_mad_u64_u32 v[2:3], s[0:1], v6, s15, 0
	v_mul_hi_u32 v5, v6, s18
	v_addc_co_u32_e32 v4, vcc, v1, v7, vcc
	v_xor_b32_e32 v8, v4, v7
	v_add_co_u32_e32 v9, vcc, v5, v2
	v_addc_co_u32_e32 v10, vcc, 0, v3, vcc
	v_mad_u64_u32 v[2:3], s[0:1], v8, s18, 0
	v_mad_u64_u32 v[4:5], s[0:1], v8, s15, 0
	v_add_co_u32_e32 v2, vcc, v9, v2
	v_addc_co_u32_e32 v2, vcc, v10, v3, vcc
	v_addc_co_u32_e32 v3, vcc, 0, v5, vcc
	v_add_co_u32_e32 v4, vcc, v2, v4
	v_addc_co_u32_e32 v5, vcc, 0, v3, vcc
	v_mul_lo_u32 v9, s17, v4
	v_mul_lo_u32 v10, s16, v5
	v_mad_u64_u32 v[2:3], s[0:1], s16, v4, 0
	v_add3_u32 v3, v3, v10, v9
	v_sub_u32_e32 v9, v8, v3
	v_mov_b32_e32 v10, s17
	v_sub_co_u32_e32 v2, vcc, v6, v2
	v_subb_co_u32_e64 v6, s[0:1], v9, v10, vcc
	v_subrev_co_u32_e64 v9, s[0:1], s16, v2
	v_subbrev_co_u32_e64 v6, s[0:1], 0, v6, s[0:1]
	v_cmp_le_u32_e64 s[0:1], s17, v6
	v_cndmask_b32_e64 v10, 0, -1, s[0:1]
	v_cmp_le_u32_e64 s[0:1], s16, v9
	v_cndmask_b32_e64 v9, 0, -1, s[0:1]
	v_cmp_eq_u32_e64 s[0:1], s17, v6
	v_cndmask_b32_e64 v6, v10, v9, s[0:1]
	v_add_co_u32_e64 v9, s[0:1], 2, v4
	v_subb_co_u32_e32 v3, vcc, v8, v3, vcc
	v_addc_co_u32_e64 v10, s[0:1], 0, v5, s[0:1]
	v_cmp_le_u32_e32 vcc, s17, v3
	v_add_co_u32_e64 v11, s[0:1], 1, v4
	v_cndmask_b32_e64 v8, 0, -1, vcc
	v_cmp_le_u32_e32 vcc, s16, v2
	v_addc_co_u32_e64 v12, s[0:1], 0, v5, s[0:1]
	v_cndmask_b32_e64 v2, 0, -1, vcc
	v_cmp_eq_u32_e32 vcc, s17, v3
	v_cmp_ne_u32_e64 s[0:1], 0, v6
	v_cndmask_b32_e32 v2, v8, v2, vcc
	v_cndmask_b32_e64 v6, v12, v10, s[0:1]
	v_cmp_ne_u32_e32 vcc, 0, v2
	v_cndmask_b32_e64 v3, v11, v9, s[0:1]
	v_cndmask_b32_e32 v2, v5, v6, vcc
	v_cndmask_b32_e32 v3, v4, v3, vcc
	v_xor_b32_e32 v4, s14, v7
	v_xor_b32_e32 v5, v2, v4
	;; [unrolled: 1-line block ×3, first 2 shown]
	v_sub_co_u32_e32 v2, vcc, v2, v4
	v_subb_co_u32_e32 v3, vcc, v5, v4, vcc
.LBB11_3:
	s_andn2_saveexec_b64 s[0:1], s[12:13]
	s_cbranch_execz .LBB11_5
; %bb.4:
	v_cvt_f32_u32_e32 v2, s10
	s_sub_i32 s12, 0, s10
	v_rcp_iflag_f32_e32 v2, v2
	v_mul_f32_e32 v2, 0x4f7ffffe, v2
	v_cvt_u32_f32_e32 v2, v2
	v_mul_lo_u32 v3, s12, v2
	v_mul_hi_u32 v3, v2, v3
	v_add_u32_e32 v2, v2, v3
	v_mul_hi_u32 v2, v0, v2
	v_mul_lo_u32 v3, v2, s10
	v_add_u32_e32 v4, 1, v2
	v_sub_u32_e32 v3, v0, v3
	v_subrev_u32_e32 v5, s10, v3
	v_cmp_le_u32_e32 vcc, s10, v3
	v_cndmask_b32_e32 v3, v3, v5, vcc
	v_cndmask_b32_e32 v2, v2, v4, vcc
	v_add_u32_e32 v4, 1, v2
	v_cmp_le_u32_e32 vcc, s10, v3
	v_cndmask_b32_e32 v2, v2, v4, vcc
	v_mov_b32_e32 v3, 0
.LBB11_5:
	s_or_b64 exec, exec, s[0:1]
	v_or_b32_e32 v5, s3, v3
	v_mov_b32_e32 v4, 0
	v_cmp_ne_u64_e32 vcc, 0, v[4:5]
                                        ; implicit-def: $vgpr4_vgpr5
	s_and_saveexec_b64 s[0:1], vcc
	s_xor_b64 s[12:13], exec, s[0:1]
	s_cbranch_execz .LBB11_7
; %bb.6:
	s_ashr_i32 s0, s3, 31
	s_add_u32 s14, s2, s0
	s_mov_b32 s1, s0
	s_addc_u32 s15, s3, s0
	s_xor_b64 s[14:15], s[14:15], s[0:1]
	v_cvt_f32_u32_e32 v4, s14
	v_cvt_f32_u32_e32 v5, s15
	s_sub_u32 s3, 0, s14
	s_subb_u32 s16, 0, s15
	v_ashrrev_i32_e32 v6, 31, v3
	v_madmk_f32 v4, v5, 0x4f800000, v4
	v_rcp_f32_e32 v4, v4
	v_mul_f32_e32 v4, 0x5f7ffffc, v4
	v_mul_f32_e32 v5, 0x2f800000, v4
	v_trunc_f32_e32 v5, v5
	v_madmk_f32 v4, v5, 0xcf800000, v4
	v_cvt_u32_f32_e32 v5, v5
	v_cvt_u32_f32_e32 v4, v4
	v_readfirstlane_b32 s17, v5
	v_readfirstlane_b32 s0, v4
	s_mul_i32 s1, s3, s17
	s_mul_hi_u32 s19, s3, s0
	s_mul_i32 s18, s16, s0
	s_add_i32 s1, s19, s1
	s_add_i32 s1, s1, s18
	s_mul_i32 s20, s3, s0
	s_mul_i32 s19, s0, s1
	s_mul_hi_u32 s21, s0, s20
	s_mul_hi_u32 s18, s0, s1
	s_add_u32 s19, s21, s19
	s_addc_u32 s18, 0, s18
	s_mul_hi_u32 s22, s17, s20
	s_mul_i32 s20, s17, s20
	s_add_u32 s19, s19, s20
	s_mul_hi_u32 s21, s17, s1
	s_addc_u32 s18, s18, s22
	s_addc_u32 s19, s21, 0
	s_mul_i32 s1, s17, s1
	s_add_u32 s1, s18, s1
	s_addc_u32 s18, 0, s19
	s_add_u32 s19, s0, s1
	s_cselect_b64 s[0:1], -1, 0
	s_cmp_lg_u64 s[0:1], 0
	s_addc_u32 s17, s17, s18
	s_mul_i32 s0, s3, s17
	s_mul_hi_u32 s1, s3, s19
	s_add_i32 s0, s1, s0
	s_mul_i32 s16, s16, s19
	s_add_i32 s0, s0, s16
	s_mul_i32 s3, s3, s19
	s_mul_hi_u32 s16, s17, s3
	s_mul_i32 s18, s17, s3
	s_mul_i32 s21, s19, s0
	s_mul_hi_u32 s3, s19, s3
	s_mul_hi_u32 s20, s19, s0
	s_add_u32 s3, s3, s21
	s_addc_u32 s20, 0, s20
	s_add_u32 s3, s3, s18
	s_mul_hi_u32 s1, s17, s0
	s_addc_u32 s3, s20, s16
	s_addc_u32 s1, s1, 0
	s_mul_i32 s0, s17, s0
	s_add_u32 s0, s3, s0
	s_addc_u32 s3, 0, s1
	s_add_u32 s16, s19, s0
	s_cselect_b64 s[0:1], -1, 0
	s_cmp_lg_u64 s[0:1], 0
	v_add_co_u32_e32 v4, vcc, v2, v6
	s_addc_u32 s3, s17, s3
	v_xor_b32_e32 v10, v4, v6
	v_mad_u64_u32 v[4:5], s[0:1], v10, s3, 0
	v_mul_hi_u32 v9, v10, s16
	v_addc_co_u32_e32 v8, vcc, v3, v6, vcc
	v_xor_b32_e32 v11, v8, v6
	v_add_co_u32_e32 v12, vcc, v9, v4
	v_addc_co_u32_e32 v13, vcc, 0, v5, vcc
	v_mad_u64_u32 v[4:5], s[0:1], v11, s16, 0
	v_mad_u64_u32 v[8:9], s[0:1], v11, s3, 0
	v_add_co_u32_e32 v4, vcc, v12, v4
	v_addc_co_u32_e32 v4, vcc, v13, v5, vcc
	v_addc_co_u32_e32 v5, vcc, 0, v9, vcc
	v_add_co_u32_e32 v4, vcc, v4, v8
	v_addc_co_u32_e32 v5, vcc, 0, v5, vcc
	v_mul_lo_u32 v8, s15, v4
	v_mul_lo_u32 v9, s14, v5
	v_mad_u64_u32 v[4:5], s[0:1], s14, v4, 0
	v_add3_u32 v5, v5, v9, v8
	v_sub_u32_e32 v8, v11, v5
	v_mov_b32_e32 v9, s15
	v_sub_co_u32_e32 v4, vcc, v10, v4
	v_subb_co_u32_e64 v8, s[0:1], v8, v9, vcc
	v_subrev_co_u32_e64 v9, s[0:1], s14, v4
	v_subbrev_co_u32_e64 v8, s[0:1], 0, v8, s[0:1]
	v_cmp_le_u32_e64 s[0:1], s15, v8
	v_subb_co_u32_e32 v5, vcc, v11, v5, vcc
	v_cndmask_b32_e64 v10, 0, -1, s[0:1]
	v_cmp_le_u32_e64 s[0:1], s14, v9
	v_cmp_le_u32_e32 vcc, s15, v5
	v_cndmask_b32_e64 v12, 0, -1, s[0:1]
	v_cmp_eq_u32_e64 s[0:1], s15, v8
	v_cndmask_b32_e64 v11, 0, -1, vcc
	v_cmp_le_u32_e32 vcc, s14, v4
	v_cndmask_b32_e64 v8, v10, v12, s[0:1]
	v_cndmask_b32_e64 v12, 0, -1, vcc
	v_cmp_eq_u32_e32 vcc, s15, v5
	v_subrev_co_u32_e64 v10, s[0:1], s14, v9
	v_cndmask_b32_e32 v5, v11, v12, vcc
	v_cmp_ne_u32_e32 vcc, 0, v8
	v_cndmask_b32_e32 v8, v9, v10, vcc
	v_cmp_ne_u32_e32 vcc, 0, v5
	v_cndmask_b32_e32 v4, v4, v8, vcc
	v_xor_b32_e32 v4, v4, v6
	v_sub_co_u32_e32 v4, vcc, v4, v6
.LBB11_7:
	s_andn2_saveexec_b64 s[0:1], s[12:13]
	s_cbranch_execz .LBB11_9
; %bb.8:
	v_cvt_f32_u32_e32 v4, s2
	s_sub_i32 s3, 0, s2
	v_rcp_iflag_f32_e32 v4, v4
	v_mul_f32_e32 v4, 0x4f7ffffe, v4
	v_cvt_u32_f32_e32 v4, v4
	v_mul_lo_u32 v5, s3, v4
	v_mul_hi_u32 v5, v4, v5
	v_add_u32_e32 v4, v4, v5
	v_mul_hi_u32 v4, v2, v4
	v_mul_lo_u32 v4, v4, s2
	v_sub_u32_e32 v4, v2, v4
	v_subrev_u32_e32 v5, s2, v4
	v_cmp_le_u32_e32 vcc, s2, v4
	v_cndmask_b32_e32 v4, v4, v5, vcc
	v_subrev_u32_e32 v5, s2, v4
	v_cmp_le_u32_e32 vcc, s2, v4
	v_cndmask_b32_e32 v4, v4, v5, vcc
.LBB11_9:
	s_or_b64 exec, exec, s[0:1]
	v_or_b32_e32 v6, s9, v1
	v_mov_b32_e32 v5, 0
	v_cmp_ne_u64_e32 vcc, 0, v[5:6]
                                        ; implicit-def: $vgpr5_vgpr6
	s_and_saveexec_b64 s[0:1], vcc
	s_xor_b64 s[2:3], exec, s[0:1]
	s_cbranch_execz .LBB11_11
; %bb.10:
	s_ashr_i32 s12, s9, 31
	s_add_u32 s0, s6, s12
	s_mov_b32 s13, s12
	s_addc_u32 s1, s9, s12
	s_xor_b64 s[14:15], s[0:1], s[12:13]
	v_cvt_f32_u32_e32 v5, s14
	v_cvt_f32_u32_e32 v6, s15
	s_sub_u32 s9, 0, s14
	s_subb_u32 s13, 0, s15
	v_madmk_f32 v5, v6, 0x4f800000, v5
	v_rcp_f32_e32 v5, v5
	v_mul_f32_e32 v5, 0x5f7ffffc, v5
	v_mul_f32_e32 v6, 0x2f800000, v5
	v_trunc_f32_e32 v6, v6
	v_madmk_f32 v5, v6, 0xcf800000, v5
	v_cvt_u32_f32_e32 v6, v6
	v_cvt_u32_f32_e32 v5, v5
	v_readfirstlane_b32 s16, v6
	v_readfirstlane_b32 s0, v5
	s_mul_i32 s1, s9, s16
	s_mul_hi_u32 s18, s9, s0
	s_mul_i32 s17, s13, s0
	s_add_i32 s1, s18, s1
	s_add_i32 s1, s1, s17
	s_mul_i32 s19, s9, s0
	s_mul_i32 s18, s0, s1
	s_mul_hi_u32 s20, s0, s19
	s_mul_hi_u32 s17, s0, s1
	s_add_u32 s18, s20, s18
	s_addc_u32 s17, 0, s17
	s_mul_hi_u32 s21, s16, s19
	s_mul_i32 s19, s16, s19
	s_add_u32 s18, s18, s19
	s_mul_hi_u32 s20, s16, s1
	s_addc_u32 s17, s17, s21
	s_addc_u32 s18, s20, 0
	s_mul_i32 s1, s16, s1
	s_add_u32 s1, s17, s1
	s_addc_u32 s17, 0, s18
	s_add_u32 s18, s0, s1
	s_cselect_b64 s[0:1], -1, 0
	s_cmp_lg_u64 s[0:1], 0
	s_addc_u32 s16, s16, s17
	s_mul_i32 s0, s9, s16
	s_mul_hi_u32 s1, s9, s18
	s_add_i32 s0, s1, s0
	s_mul_i32 s13, s13, s18
	s_add_i32 s0, s0, s13
	s_mul_i32 s9, s9, s18
	s_mul_hi_u32 s13, s16, s9
	s_mul_i32 s17, s16, s9
	s_mul_i32 s20, s18, s0
	s_mul_hi_u32 s9, s18, s9
	s_mul_hi_u32 s19, s18, s0
	s_add_u32 s9, s9, s20
	s_addc_u32 s19, 0, s19
	s_add_u32 s9, s9, s17
	s_mul_hi_u32 s1, s16, s0
	s_addc_u32 s9, s19, s13
	s_addc_u32 s1, s1, 0
	s_mul_i32 s0, s16, s0
	s_add_u32 s0, s9, s0
	s_addc_u32 s9, 0, s1
	s_add_u32 s13, s18, s0
	s_cselect_b64 s[0:1], -1, 0
	s_cmp_lg_u64 s[0:1], 0
	v_add_co_u32_e32 v5, vcc, v0, v7
	s_addc_u32 s9, s16, s9
	v_xor_b32_e32 v10, v5, v7
	v_mad_u64_u32 v[5:6], s[0:1], v10, s9, 0
	v_mul_hi_u32 v9, v10, s13
	v_addc_co_u32_e32 v8, vcc, v1, v7, vcc
	v_xor_b32_e32 v11, v8, v7
	v_add_co_u32_e32 v12, vcc, v9, v5
	v_addc_co_u32_e32 v13, vcc, 0, v6, vcc
	v_mad_u64_u32 v[5:6], s[0:1], v11, s13, 0
	v_mad_u64_u32 v[8:9], s[0:1], v11, s9, 0
	v_add_co_u32_e32 v5, vcc, v12, v5
	v_addc_co_u32_e32 v5, vcc, v13, v6, vcc
	v_addc_co_u32_e32 v6, vcc, 0, v9, vcc
	v_add_co_u32_e32 v8, vcc, v5, v8
	v_addc_co_u32_e32 v5, vcc, 0, v6, vcc
	v_mul_lo_u32 v9, s15, v8
	v_mul_lo_u32 v12, s14, v5
	v_mad_u64_u32 v[5:6], s[0:1], s14, v8, 0
	v_add3_u32 v6, v6, v12, v9
	v_sub_u32_e32 v9, v11, v6
	v_mov_b32_e32 v12, s15
	v_sub_co_u32_e32 v5, vcc, v10, v5
	v_subb_co_u32_e64 v9, s[0:1], v9, v12, vcc
	v_subrev_co_u32_e64 v10, s[0:1], s14, v5
	v_subbrev_co_u32_e64 v9, s[0:1], 0, v9, s[0:1]
	v_cmp_le_u32_e64 s[0:1], s15, v9
	v_subb_co_u32_e32 v6, vcc, v11, v6, vcc
	v_cndmask_b32_e64 v12, 0, -1, s[0:1]
	v_cmp_le_u32_e64 s[0:1], s14, v10
	v_cmp_le_u32_e32 vcc, s15, v6
	v_cndmask_b32_e64 v10, 0, -1, s[0:1]
	v_cmp_eq_u32_e64 s[0:1], s15, v9
	v_cndmask_b32_e64 v11, 0, -1, vcc
	v_cmp_le_u32_e32 vcc, s14, v5
	v_cndmask_b32_e64 v9, v12, v10, s[0:1]
	v_cndmask_b32_e64 v5, 0, -1, vcc
	v_cmp_eq_u32_e32 vcc, s15, v6
	v_add_co_u32_e64 v10, s[0:1], 2, v8
	v_add_co_u32_e64 v12, s[0:1], 1, v8
	v_cndmask_b32_e32 v5, v11, v5, vcc
	v_cmp_ne_u32_e32 vcc, 0, v9
	v_cndmask_b32_e32 v6, v12, v10, vcc
	v_cmp_ne_u32_e32 vcc, 0, v5
	v_cndmask_b32_e32 v5, v8, v6, vcc
	v_xor_b32_e32 v6, s12, v7
	v_xor_b32_e32 v5, v5, v6
	v_sub_co_u32_e32 v5, vcc, v5, v6
.LBB11_11:
	s_andn2_saveexec_b64 s[0:1], s[2:3]
	s_cbranch_execz .LBB11_13
; %bb.12:
	v_cvt_f32_u32_e32 v5, s6
	s_sub_i32 s2, 0, s6
	v_rcp_iflag_f32_e32 v5, v5
	v_mul_f32_e32 v5, 0x4f7ffffe, v5
	v_cvt_u32_f32_e32 v5, v5
	v_mul_lo_u32 v6, s2, v5
	v_mul_hi_u32 v6, v5, v6
	v_add_u32_e32 v5, v5, v6
	v_mul_hi_u32 v5, v0, v5
	v_mul_lo_u32 v6, v5, s6
	v_add_u32_e32 v7, 1, v5
	v_sub_u32_e32 v6, v0, v6
	v_subrev_u32_e32 v8, s6, v6
	v_cmp_le_u32_e32 vcc, s6, v6
	v_cndmask_b32_e32 v6, v6, v8, vcc
	v_cndmask_b32_e32 v5, v5, v7, vcc
	v_add_u32_e32 v7, 1, v5
	v_cmp_le_u32_e32 vcc, s6, v6
	v_cndmask_b32_e32 v5, v5, v7, vcc
.LBB11_13:
	s_or_b64 exec, exec, s[0:1]
	v_mul_lo_u32 v6, v3, s10
	v_mul_lo_u32 v7, v2, s11
	v_mad_u64_u32 v[2:3], s[0:1], v2, s10, 0
	s_load_dwordx4 s[0:3], s[4:5], 0xb0
	s_load_dword s6, s[4:5], 0xc0
	s_load_dwordx2 s[34:35], s[4:5], 0xa8
	v_add3_u32 v3, v3, v7, v6
	v_sub_co_u32_e32 v6, vcc, v0, v2
	s_waitcnt lgkmcnt(0)
	s_add_i32 s33, s6, s8
	s_load_dwordx16 s[8:23], s[4:5], 0x18
	v_subb_co_u32_e32 v7, vcc, v1, v3, vcc
	s_add_i32 s36, s3, s7
	s_sub_i32 s3, 0, s2
	s_sub_i32 s6, 0, s1
	s_max_i32 s25, s2, 0
	s_waitcnt lgkmcnt(0)
	s_max_i32 s9, s1, 0
	v_max_i32_e32 v0, s2, v6
	s_add_i32 s2, s2, s12
	v_max_i32_e32 v1, s1, v4
	s_add_i32 s1, s1, s10
	s_max_i32 s3, s3, 0
	s_max_i32 s24, s6, 0
	s_add_i32 s2, s2, -1
	s_add_i32 s1, s1, -1
	v_min_i32_e32 v0, s2, v0
	s_sub_i32 s2, s3, s25
	v_min_i32_e32 v1, s1, v1
	s_sub_i32 s1, s24, s9
	s_load_dwordx8 s[24:31], s[4:5], 0x88
	s_sub_i32 s6, 0, s0
	s_max_i32 s11, s0, 0
	v_add_u32_e32 v8, s1, v1
	v_max_i32_e32 v1, s0, v5
	s_add_i32 s0, s0, s8
	s_max_i32 s37, s6, 0
	s_add_i32 s0, s0, -1
	v_min_i32_e32 v1, s0, v1
	s_sub_i32 s0, s37, s11
	v_add_u32_e32 v9, s0, v1
	s_ashr_i32 s8, s33, 31
	s_load_dwordx2 s[0:1], s[4:5], 0x58
	v_add_u32_e32 v0, s2, v0
	s_waitcnt lgkmcnt(0)
	s_mul_i32 s2, s24, s8
	s_mul_hi_u32 s3, s24, s33
	s_add_i32 s2, s3, s2
	s_mul_i32 s3, s25, s33
	s_add_i32 s3, s2, s3
	s_mul_i32 s2, s24, s33
	s_lshl_b64 s[2:3], s[2:3], 1
	s_load_dwordx2 s[6:7], s[4:5], 0x0
	s_add_u32 s4, s0, s2
	s_addc_u32 s5, s1, s3
	s_ashr_i32 s9, s36, 31
	s_mul_i32 s0, s26, s9
	s_mul_hi_u32 s1, s26, s36
	v_ashrrev_i32_e32 v1, 31, v5
	s_add_i32 s0, s1, s0
	s_mul_i32 s1, s27, s36
	v_mul_lo_u32 v3, s29, v5
	v_mul_lo_u32 v10, s28, v1
	v_mad_u64_u32 v[1:2], s[2:3], s28, v5, 0
	s_add_i32 s1, s0, s1
	s_mul_i32 s0, s26, s36
	s_lshl_b64 s[0:1], s[0:1], 1
	s_add_u32 s2, s4, s0
	s_addc_u32 s0, s5, s1
	v_add3_u32 v2, v2, v10, v3
	v_ashrrev_i32_e32 v3, 31, v4
	v_mov_b32_e32 v5, s0
	v_mul_lo_u32 v10, s31, v4
	v_mul_lo_u32 v11, s30, v3
	v_mad_u64_u32 v[3:4], s[0:1], s30, v4, 0
	v_lshlrev_b64 v[1:2], 1, v[1:2]
	v_mul_lo_u32 v7, s34, v7
	v_add_co_u32_e32 v12, vcc, s2, v1
	v_add3_u32 v4, v4, v11, v10
	v_addc_co_u32_e32 v5, vcc, v5, v2, vcc
	v_lshlrev_b64 v[1:2], 1, v[3:4]
	v_mul_lo_u32 v10, s35, v6
	v_mad_u64_u32 v[3:4], s[0:1], s34, v6, 0
	s_mul_i32 s0, s14, s8
	s_mul_hi_u32 s1, s14, s33
	s_add_i32 s0, s1, s0
	s_mul_i32 s1, s15, s33
	v_add_co_u32_e32 v6, vcc, v12, v1
	v_add3_u32 v4, v4, v7, v10
	s_add_i32 s1, s0, s1
	s_mul_i32 s0, s14, s33
	v_addc_co_u32_e32 v5, vcc, v5, v2, vcc
	v_lshlrev_b64 v[1:2], 1, v[3:4]
	s_lshl_b64 s[0:1], s[0:1], 1
	s_waitcnt lgkmcnt(0)
	s_add_u32 s4, s6, s0
	v_add_co_u32_e32 v1, vcc, v6, v1
	s_addc_u32 s5, s7, s1
	s_mul_i32 s0, s16, s9
	s_mul_hi_u32 s1, s16, s36
	v_ashrrev_i32_e32 v3, 31, v9
	v_addc_co_u32_e32 v2, vcc, v5, v2, vcc
	s_add_i32 s0, s1, s0
	s_mul_i32 s1, s17, s36
	v_mul_lo_u32 v5, s18, v3
	v_mul_lo_u32 v6, s19, v9
	v_mad_u64_u32 v[3:4], s[2:3], s18, v9, 0
	s_add_i32 s1, s0, s1
	s_mul_i32 s0, s16, s36
	s_lshl_b64 s[0:1], s[0:1], 1
	s_add_u32 s2, s4, s0
	s_addc_u32 s0, s5, s1
	v_add3_u32 v4, v4, v5, v6
	v_ashrrev_i32_e32 v5, 31, v8
	v_mov_b32_e32 v7, s0
	v_mul_lo_u32 v9, s20, v5
	v_mul_lo_u32 v10, s21, v8
	v_mad_u64_u32 v[5:6], s[0:1], s20, v8, 0
	v_lshlrev_b64 v[3:4], 1, v[3:4]
	global_load_ushort v2, v[1:2], off
	v_add_co_u32_e32 v8, vcc, s2, v3
	v_add3_u32 v6, v6, v9, v10
	v_addc_co_u32_e32 v7, vcc, v7, v4, vcc
	v_lshlrev_b64 v[3:4], 1, v[5:6]
	v_ashrrev_i32_e32 v5, 31, v0
	v_mul_lo_u32 v9, s22, v5
	v_mul_lo_u32 v10, s23, v0
	v_mad_u64_u32 v[5:6], s[0:1], s22, v0, 0
	v_add_co_u32_e32 v0, vcc, v8, v3
	v_add3_u32 v6, v6, v9, v10
	v_addc_co_u32_e32 v7, vcc, v7, v4, vcc
	v_lshlrev_b64 v[3:4], 1, v[5:6]
	s_mov_b64 s[2:3], 0
	v_add_co_u32_e32 v0, vcc, v0, v3
	v_addc_co_u32_e32 v3, vcc, v7, v4, vcc
	v_and_b32_e32 v4, 2, v0
	v_sub_co_u32_e32 v5, vcc, 0, v4
	v_subb_co_u32_e64 v6, s[0:1], 0, 0, vcc
	v_add_co_u32_e32 v0, vcc, v0, v5
	v_addc_co_u32_e32 v1, vcc, v3, v6, vcc
	global_load_dword v3, v[0:1], off
	v_mov_b32_e32 v5, 0
	v_cmp_eq_u64_e64 s[0:1], 0, v[4:5]
	s_movk_i32 s4, 0x7fff
	s_mov_b32 s5, 0xffff0000
	v_mov_b32_e32 v5, 0x7fc0
	s_waitcnt vmcnt(1)
	v_lshlrev_b32_e32 v4, 16, v2
.LBB11_14:                              ; =>This Inner Loop Header: Depth=1
	s_mov_b64 vcc, s[0:1]
	s_waitcnt vmcnt(0)
	v_and_b32_e32 v2, 0xffff, v3
	v_cndmask_b32_sdwa v6, v3, v2, vcc dst_sel:WORD_1 dst_unused:UNUSED_PAD src0_sel:WORD_1 src1_sel:DWORD
	v_add_f32_e32 v6, v4, v6
	v_bfe_u32 v7, v6, 16, 1
	v_cmp_o_f32_e32 vcc, v6, v6
	v_add3_u32 v6, v6, v7, s4
	v_cndmask_b32_sdwa v6, v5, v6, vcc dst_sel:DWORD dst_unused:UNUSED_PAD src0_sel:DWORD src1_sel:WORD_1
	v_lshl_or_b32 v2, v6, 16, v2
	v_and_or_b32 v6, v3, s5, v6
	v_cndmask_b32_e64 v2, v2, v6, s[0:1]
	global_atomic_cmpswap v2, v[0:1], v[2:3], off glc
	s_waitcnt vmcnt(0)
	v_cmp_eq_u32_e32 vcc, v3, v2
	s_or_b64 s[2:3], vcc, s[2:3]
	v_mov_b32_e32 v3, v2
	s_andn2_b64 exec, exec, s[2:3]
	s_cbranch_execnz .LBB11_14
.LBB11_15:
	s_endpgm
	.section	.rodata,"a",@progbits
	.p2align	6, 0x0
	.amdhsa_kernel _ZN2at6native12_GLOBAL__N_131replication_pad_backward_kernelIN3c108BFloat16EEEvN5torch10headeronly6detail27GenericPackedTensorAccessorINS7_14TensorAccessorINS3_8ArrayRefIlEET_Lm4ENS6_16DefaultPtrTraitsElEENS_6detail16IndexBoundsCheckILm5ElEESC_Lm5ESD_lEENS8_INS9_ISB_KSC_Lm4ESD_lEESH_SJ_Lm5ESD_lEEiiiii
		.amdhsa_group_segment_fixed_size 0
		.amdhsa_private_segment_fixed_size 0
		.amdhsa_kernarg_size 456
		.amdhsa_user_sgpr_count 6
		.amdhsa_user_sgpr_private_segment_buffer 1
		.amdhsa_user_sgpr_dispatch_ptr 0
		.amdhsa_user_sgpr_queue_ptr 0
		.amdhsa_user_sgpr_kernarg_segment_ptr 1
		.amdhsa_user_sgpr_dispatch_id 0
		.amdhsa_user_sgpr_flat_scratch_init 0
		.amdhsa_user_sgpr_private_segment_size 0
		.amdhsa_uses_dynamic_stack 0
		.amdhsa_system_sgpr_private_segment_wavefront_offset 0
		.amdhsa_system_sgpr_workgroup_id_x 1
		.amdhsa_system_sgpr_workgroup_id_y 1
		.amdhsa_system_sgpr_workgroup_id_z 1
		.amdhsa_system_sgpr_workgroup_info 0
		.amdhsa_system_vgpr_workitem_id 0
		.amdhsa_next_free_vgpr 14
		.amdhsa_next_free_sgpr 38
		.amdhsa_reserve_vcc 1
		.amdhsa_reserve_flat_scratch 0
		.amdhsa_float_round_mode_32 0
		.amdhsa_float_round_mode_16_64 0
		.amdhsa_float_denorm_mode_32 3
		.amdhsa_float_denorm_mode_16_64 3
		.amdhsa_dx10_clamp 1
		.amdhsa_ieee_mode 1
		.amdhsa_fp16_overflow 0
		.amdhsa_exception_fp_ieee_invalid_op 0
		.amdhsa_exception_fp_denorm_src 0
		.amdhsa_exception_fp_ieee_div_zero 0
		.amdhsa_exception_fp_ieee_overflow 0
		.amdhsa_exception_fp_ieee_underflow 0
		.amdhsa_exception_fp_ieee_inexact 0
		.amdhsa_exception_int_div_zero 0
	.end_amdhsa_kernel
	.section	.text._ZN2at6native12_GLOBAL__N_131replication_pad_backward_kernelIN3c108BFloat16EEEvN5torch10headeronly6detail27GenericPackedTensorAccessorINS7_14TensorAccessorINS3_8ArrayRefIlEET_Lm4ENS6_16DefaultPtrTraitsElEENS_6detail16IndexBoundsCheckILm5ElEESC_Lm5ESD_lEENS8_INS9_ISB_KSC_Lm4ESD_lEESH_SJ_Lm5ESD_lEEiiiii,"axG",@progbits,_ZN2at6native12_GLOBAL__N_131replication_pad_backward_kernelIN3c108BFloat16EEEvN5torch10headeronly6detail27GenericPackedTensorAccessorINS7_14TensorAccessorINS3_8ArrayRefIlEET_Lm4ENS6_16DefaultPtrTraitsElEENS_6detail16IndexBoundsCheckILm5ElEESC_Lm5ESD_lEENS8_INS9_ISB_KSC_Lm4ESD_lEESH_SJ_Lm5ESD_lEEiiiii,comdat
.Lfunc_end11:
	.size	_ZN2at6native12_GLOBAL__N_131replication_pad_backward_kernelIN3c108BFloat16EEEvN5torch10headeronly6detail27GenericPackedTensorAccessorINS7_14TensorAccessorINS3_8ArrayRefIlEET_Lm4ENS6_16DefaultPtrTraitsElEENS_6detail16IndexBoundsCheckILm5ElEESC_Lm5ESD_lEENS8_INS9_ISB_KSC_Lm4ESD_lEESH_SJ_Lm5ESD_lEEiiiii, .Lfunc_end11-_ZN2at6native12_GLOBAL__N_131replication_pad_backward_kernelIN3c108BFloat16EEEvN5torch10headeronly6detail27GenericPackedTensorAccessorINS7_14TensorAccessorINS3_8ArrayRefIlEET_Lm4ENS6_16DefaultPtrTraitsElEENS_6detail16IndexBoundsCheckILm5ElEESC_Lm5ESD_lEENS8_INS9_ISB_KSC_Lm4ESD_lEESH_SJ_Lm5ESD_lEEiiiii
                                        ; -- End function
	.set _ZN2at6native12_GLOBAL__N_131replication_pad_backward_kernelIN3c108BFloat16EEEvN5torch10headeronly6detail27GenericPackedTensorAccessorINS7_14TensorAccessorINS3_8ArrayRefIlEET_Lm4ENS6_16DefaultPtrTraitsElEENS_6detail16IndexBoundsCheckILm5ElEESC_Lm5ESD_lEENS8_INS9_ISB_KSC_Lm4ESD_lEESH_SJ_Lm5ESD_lEEiiiii.num_vgpr, 14
	.set _ZN2at6native12_GLOBAL__N_131replication_pad_backward_kernelIN3c108BFloat16EEEvN5torch10headeronly6detail27GenericPackedTensorAccessorINS7_14TensorAccessorINS3_8ArrayRefIlEET_Lm4ENS6_16DefaultPtrTraitsElEENS_6detail16IndexBoundsCheckILm5ElEESC_Lm5ESD_lEENS8_INS9_ISB_KSC_Lm4ESD_lEESH_SJ_Lm5ESD_lEEiiiii.num_agpr, 0
	.set _ZN2at6native12_GLOBAL__N_131replication_pad_backward_kernelIN3c108BFloat16EEEvN5torch10headeronly6detail27GenericPackedTensorAccessorINS7_14TensorAccessorINS3_8ArrayRefIlEET_Lm4ENS6_16DefaultPtrTraitsElEENS_6detail16IndexBoundsCheckILm5ElEESC_Lm5ESD_lEENS8_INS9_ISB_KSC_Lm4ESD_lEESH_SJ_Lm5ESD_lEEiiiii.numbered_sgpr, 38
	.set _ZN2at6native12_GLOBAL__N_131replication_pad_backward_kernelIN3c108BFloat16EEEvN5torch10headeronly6detail27GenericPackedTensorAccessorINS7_14TensorAccessorINS3_8ArrayRefIlEET_Lm4ENS6_16DefaultPtrTraitsElEENS_6detail16IndexBoundsCheckILm5ElEESC_Lm5ESD_lEENS8_INS9_ISB_KSC_Lm4ESD_lEESH_SJ_Lm5ESD_lEEiiiii.num_named_barrier, 0
	.set _ZN2at6native12_GLOBAL__N_131replication_pad_backward_kernelIN3c108BFloat16EEEvN5torch10headeronly6detail27GenericPackedTensorAccessorINS7_14TensorAccessorINS3_8ArrayRefIlEET_Lm4ENS6_16DefaultPtrTraitsElEENS_6detail16IndexBoundsCheckILm5ElEESC_Lm5ESD_lEENS8_INS9_ISB_KSC_Lm4ESD_lEESH_SJ_Lm5ESD_lEEiiiii.private_seg_size, 0
	.set _ZN2at6native12_GLOBAL__N_131replication_pad_backward_kernelIN3c108BFloat16EEEvN5torch10headeronly6detail27GenericPackedTensorAccessorINS7_14TensorAccessorINS3_8ArrayRefIlEET_Lm4ENS6_16DefaultPtrTraitsElEENS_6detail16IndexBoundsCheckILm5ElEESC_Lm5ESD_lEENS8_INS9_ISB_KSC_Lm4ESD_lEESH_SJ_Lm5ESD_lEEiiiii.uses_vcc, 1
	.set _ZN2at6native12_GLOBAL__N_131replication_pad_backward_kernelIN3c108BFloat16EEEvN5torch10headeronly6detail27GenericPackedTensorAccessorINS7_14TensorAccessorINS3_8ArrayRefIlEET_Lm4ENS6_16DefaultPtrTraitsElEENS_6detail16IndexBoundsCheckILm5ElEESC_Lm5ESD_lEENS8_INS9_ISB_KSC_Lm4ESD_lEESH_SJ_Lm5ESD_lEEiiiii.uses_flat_scratch, 0
	.set _ZN2at6native12_GLOBAL__N_131replication_pad_backward_kernelIN3c108BFloat16EEEvN5torch10headeronly6detail27GenericPackedTensorAccessorINS7_14TensorAccessorINS3_8ArrayRefIlEET_Lm4ENS6_16DefaultPtrTraitsElEENS_6detail16IndexBoundsCheckILm5ElEESC_Lm5ESD_lEENS8_INS9_ISB_KSC_Lm4ESD_lEESH_SJ_Lm5ESD_lEEiiiii.has_dyn_sized_stack, 0
	.set _ZN2at6native12_GLOBAL__N_131replication_pad_backward_kernelIN3c108BFloat16EEEvN5torch10headeronly6detail27GenericPackedTensorAccessorINS7_14TensorAccessorINS3_8ArrayRefIlEET_Lm4ENS6_16DefaultPtrTraitsElEENS_6detail16IndexBoundsCheckILm5ElEESC_Lm5ESD_lEENS8_INS9_ISB_KSC_Lm4ESD_lEESH_SJ_Lm5ESD_lEEiiiii.has_recursion, 0
	.set _ZN2at6native12_GLOBAL__N_131replication_pad_backward_kernelIN3c108BFloat16EEEvN5torch10headeronly6detail27GenericPackedTensorAccessorINS7_14TensorAccessorINS3_8ArrayRefIlEET_Lm4ENS6_16DefaultPtrTraitsElEENS_6detail16IndexBoundsCheckILm5ElEESC_Lm5ESD_lEENS8_INS9_ISB_KSC_Lm4ESD_lEESH_SJ_Lm5ESD_lEEiiiii.has_indirect_call, 0
	.section	.AMDGPU.csdata,"",@progbits
; Kernel info:
; codeLenInByte = 3128
; TotalNumSgprs: 42
; NumVgprs: 14
; ScratchSize: 0
; MemoryBound: 0
; FloatMode: 240
; IeeeMode: 1
; LDSByteSize: 0 bytes/workgroup (compile time only)
; SGPRBlocks: 5
; VGPRBlocks: 3
; NumSGPRsForWavesPerEU: 42
; NumVGPRsForWavesPerEU: 14
; Occupancy: 10
; WaveLimiterHint : 1
; COMPUTE_PGM_RSRC2:SCRATCH_EN: 0
; COMPUTE_PGM_RSRC2:USER_SGPR: 6
; COMPUTE_PGM_RSRC2:TRAP_HANDLER: 0
; COMPUTE_PGM_RSRC2:TGID_X_EN: 1
; COMPUTE_PGM_RSRC2:TGID_Y_EN: 1
; COMPUTE_PGM_RSRC2:TGID_Z_EN: 1
; COMPUTE_PGM_RSRC2:TIDIG_COMP_CNT: 0
	.section	.text._ZN2at6native12_GLOBAL__N_132replication_pad_forward_kernel1dIhEEvN5torch10headeronly6detail27GenericPackedTensorAccessorINS5_14TensorAccessorIN3c108ArrayRefIlEEKT_Lm2ENS4_16DefaultPtrTraitsElEENS_6detail16IndexBoundsCheckILm3ElEESC_Lm3ESD_lEENS6_INS7_ISA_SB_Lm2ESD_lEESH_SB_Lm3ESD_lEEiii,"axG",@progbits,_ZN2at6native12_GLOBAL__N_132replication_pad_forward_kernel1dIhEEvN5torch10headeronly6detail27GenericPackedTensorAccessorINS5_14TensorAccessorIN3c108ArrayRefIlEEKT_Lm2ENS4_16DefaultPtrTraitsElEENS_6detail16IndexBoundsCheckILm3ElEESC_Lm3ESD_lEENS6_INS7_ISA_SB_Lm2ESD_lEESH_SB_Lm3ESD_lEEiii,comdat
	.globl	_ZN2at6native12_GLOBAL__N_132replication_pad_forward_kernel1dIhEEvN5torch10headeronly6detail27GenericPackedTensorAccessorINS5_14TensorAccessorIN3c108ArrayRefIlEEKT_Lm2ENS4_16DefaultPtrTraitsElEENS_6detail16IndexBoundsCheckILm3ElEESC_Lm3ESD_lEENS6_INS7_ISA_SB_Lm2ESD_lEESH_SB_Lm3ESD_lEEiii ; -- Begin function _ZN2at6native12_GLOBAL__N_132replication_pad_forward_kernel1dIhEEvN5torch10headeronly6detail27GenericPackedTensorAccessorINS5_14TensorAccessorIN3c108ArrayRefIlEEKT_Lm2ENS4_16DefaultPtrTraitsElEENS_6detail16IndexBoundsCheckILm3ElEESC_Lm3ESD_lEENS6_INS7_ISA_SB_Lm2ESD_lEESH_SB_Lm3ESD_lEEiii
	.p2align	8
	.type	_ZN2at6native12_GLOBAL__N_132replication_pad_forward_kernel1dIhEEvN5torch10headeronly6detail27GenericPackedTensorAccessorINS5_14TensorAccessorIN3c108ArrayRefIlEEKT_Lm2ENS4_16DefaultPtrTraitsElEENS_6detail16IndexBoundsCheckILm3ElEESC_Lm3ESD_lEENS6_INS7_ISA_SB_Lm2ESD_lEESH_SB_Lm3ESD_lEEiii,@function
_ZN2at6native12_GLOBAL__N_132replication_pad_forward_kernel1dIhEEvN5torch10headeronly6detail27GenericPackedTensorAccessorINS5_14TensorAccessorIN3c108ArrayRefIlEEKT_Lm2ENS4_16DefaultPtrTraitsElEENS_6detail16IndexBoundsCheckILm3ElEESC_Lm3ESD_lEENS6_INS7_ISA_SB_Lm2ESD_lEESH_SB_Lm3ESD_lEEiii: ; @_ZN2at6native12_GLOBAL__N_132replication_pad_forward_kernel1dIhEEvN5torch10headeronly6detail27GenericPackedTensorAccessorINS5_14TensorAccessorIN3c108ArrayRefIlEEKT_Lm2ENS4_16DefaultPtrTraitsElEENS_6detail16IndexBoundsCheckILm3ElEESC_Lm3ESD_lEENS6_INS7_ISA_SB_Lm2ESD_lEESH_SB_Lm3ESD_lEEiii
; %bb.0:
	s_load_dword s0, s[4:5], 0x8c
	s_load_dwordx2 s[10:11], s[4:5], 0x50
	v_mov_b32_e32 v2, 0
	v_mov_b32_e32 v1, v2
	;; [unrolled: 1-line block ×3, first 2 shown]
	s_waitcnt lgkmcnt(0)
	s_and_b32 s0, s0, 0xffff
	v_mad_u64_u32 v[0:1], s[0:1], s0, v3, v[0:1]
	v_cmp_gt_i64_e32 vcc, s[10:11], v[0:1]
	s_and_saveexec_b64 s[0:1], vcc
	s_cbranch_execz .LBB12_6
; %bb.1:
	v_or_b32_e32 v3, s11, v1
	v_cmp_ne_u64_e32 vcc, 0, v[2:3]
                                        ; implicit-def: $vgpr2_vgpr3
	s_and_saveexec_b64 s[0:1], vcc
	s_xor_b64 s[12:13], exec, s[0:1]
	s_cbranch_execz .LBB12_3
; %bb.2:
	v_cvt_f32_u32_e32 v2, s10
	v_cvt_f32_u32_e32 v3, s11
	s_sub_u32 s2, 0, s10
	s_subb_u32 s3, 0, s11
	v_madmk_f32 v2, v3, 0x4f800000, v2
	v_rcp_f32_e32 v2, v2
	v_mul_f32_e32 v2, 0x5f7ffffc, v2
	v_mul_f32_e32 v3, 0x2f800000, v2
	v_trunc_f32_e32 v3, v3
	v_madmk_f32 v2, v3, 0xcf800000, v2
	v_cvt_u32_f32_e32 v3, v3
	v_cvt_u32_f32_e32 v2, v2
	v_readfirstlane_b32 s6, v3
	v_readfirstlane_b32 s0, v2
	s_mul_i32 s1, s2, s6
	s_mul_hi_u32 s14, s2, s0
	s_mul_i32 s9, s3, s0
	s_add_i32 s1, s14, s1
	s_mul_i32 s15, s2, s0
	s_add_i32 s1, s1, s9
	s_mul_i32 s14, s0, s1
	s_mul_hi_u32 s16, s0, s15
	s_mul_hi_u32 s9, s0, s1
	s_add_u32 s14, s16, s14
	s_addc_u32 s9, 0, s9
	s_mul_hi_u32 s17, s6, s15
	s_mul_i32 s15, s6, s15
	s_add_u32 s14, s14, s15
	s_mul_hi_u32 s16, s6, s1
	s_addc_u32 s9, s9, s17
	s_addc_u32 s14, s16, 0
	s_mul_i32 s1, s6, s1
	s_add_u32 s1, s9, s1
	s_addc_u32 s9, 0, s14
	s_add_u32 s14, s0, s1
	s_cselect_b64 s[0:1], -1, 0
	s_cmp_lg_u64 s[0:1], 0
	s_addc_u32 s6, s6, s9
	s_mul_i32 s0, s2, s6
	s_mul_hi_u32 s1, s2, s14
	s_add_i32 s0, s1, s0
	s_mul_i32 s3, s3, s14
	s_add_i32 s0, s0, s3
	s_mul_i32 s2, s2, s14
	s_mul_hi_u32 s3, s6, s2
	s_mul_i32 s9, s6, s2
	s_mul_i32 s16, s14, s0
	s_mul_hi_u32 s2, s14, s2
	s_mul_hi_u32 s15, s14, s0
	s_add_u32 s2, s2, s16
	s_addc_u32 s15, 0, s15
	s_add_u32 s2, s2, s9
	s_mul_hi_u32 s1, s6, s0
	s_addc_u32 s2, s15, s3
	s_addc_u32 s1, s1, 0
	s_mul_i32 s0, s6, s0
	s_add_u32 s0, s2, s0
	s_addc_u32 s2, 0, s1
	s_add_u32 s3, s14, s0
	s_cselect_b64 s[0:1], -1, 0
	s_cmp_lg_u64 s[0:1], 0
	s_addc_u32 s2, s6, s2
	v_mad_u64_u32 v[2:3], s[0:1], v0, s2, 0
	v_mul_hi_u32 v4, v0, s3
	v_add_co_u32_e32 v6, vcc, v4, v2
	v_addc_co_u32_e32 v7, vcc, 0, v3, vcc
	v_mad_u64_u32 v[2:3], s[0:1], v1, s3, 0
	v_mad_u64_u32 v[4:5], s[0:1], v1, s2, 0
	v_add_co_u32_e32 v2, vcc, v6, v2
	v_addc_co_u32_e32 v2, vcc, v7, v3, vcc
	v_addc_co_u32_e32 v3, vcc, 0, v5, vcc
	v_add_co_u32_e32 v2, vcc, v2, v4
	v_addc_co_u32_e32 v3, vcc, 0, v3, vcc
	v_mul_lo_u32 v4, s11, v2
	v_mul_lo_u32 v5, s10, v3
	v_mad_u64_u32 v[2:3], s[0:1], s10, v2, 0
	v_add3_u32 v3, v3, v5, v4
	v_sub_u32_e32 v4, v1, v3
	v_mov_b32_e32 v5, s11
	v_sub_co_u32_e32 v0, vcc, v0, v2
	v_subb_co_u32_e64 v2, s[0:1], v4, v5, vcc
	v_subrev_co_u32_e64 v4, s[0:1], s10, v0
	v_subbrev_co_u32_e64 v6, s[2:3], 0, v2, s[0:1]
	v_cmp_le_u32_e64 s[2:3], s11, v6
	v_cndmask_b32_e64 v7, 0, -1, s[2:3]
	v_cmp_le_u32_e64 s[2:3], s10, v4
	v_subb_co_u32_e64 v2, s[0:1], v2, v5, s[0:1]
	v_cndmask_b32_e64 v8, 0, -1, s[2:3]
	v_cmp_eq_u32_e64 s[2:3], s11, v6
	v_subrev_co_u32_e64 v5, s[0:1], s10, v4
	v_subb_co_u32_e32 v1, vcc, v1, v3, vcc
	v_cndmask_b32_e64 v7, v7, v8, s[2:3]
	v_subbrev_co_u32_e64 v2, s[0:1], 0, v2, s[0:1]
	v_cmp_le_u32_e32 vcc, s11, v1
	v_cmp_ne_u32_e64 s[0:1], 0, v7
	v_cndmask_b32_e64 v3, 0, -1, vcc
	v_cmp_le_u32_e32 vcc, s10, v0
	v_cndmask_b32_e64 v2, v6, v2, s[0:1]
	v_cndmask_b32_e64 v6, 0, -1, vcc
	v_cmp_eq_u32_e32 vcc, s11, v1
	v_cndmask_b32_e32 v3, v3, v6, vcc
	v_cmp_ne_u32_e32 vcc, 0, v3
	v_cndmask_b32_e32 v3, v1, v2, vcc
	v_cndmask_b32_e64 v1, v4, v5, s[0:1]
	v_cndmask_b32_e32 v2, v0, v1, vcc
                                        ; implicit-def: $vgpr0_vgpr1
.LBB12_3:
	s_andn2_saveexec_b64 s[0:1], s[12:13]
	s_cbranch_execz .LBB12_5
; %bb.4:
	v_cvt_f32_u32_e32 v1, s10
	s_sub_i32 s2, 0, s10
	v_mov_b32_e32 v3, 0
	v_rcp_iflag_f32_e32 v1, v1
	v_mul_f32_e32 v1, 0x4f7ffffe, v1
	v_cvt_u32_f32_e32 v1, v1
	v_mul_lo_u32 v2, s2, v1
	v_mul_hi_u32 v2, v1, v2
	v_add_u32_e32 v1, v1, v2
	v_mul_hi_u32 v1, v0, v1
	v_mul_lo_u32 v1, v1, s10
	v_sub_u32_e32 v0, v0, v1
	v_subrev_u32_e32 v1, s10, v0
	v_cmp_le_u32_e32 vcc, s10, v0
	v_cndmask_b32_e32 v0, v0, v1, vcc
	v_subrev_u32_e32 v1, s10, v0
	v_cmp_le_u32_e32 vcc, s10, v0
	v_cndmask_b32_e32 v2, v0, v1, vcc
.LBB12_5:
	s_or_b64 exec, exec, s[0:1]
	s_load_dwordx4 s[0:3], s[4:5], 0x70
	s_load_dwordx8 s[12:19], s[4:5], 0x18
	s_load_dwordx2 s[10:11], s[4:5], 0x68
	s_waitcnt lgkmcnt(0)
	s_add_i32 s8, s2, s8
	s_add_i32 s9, s1, s7
	s_sub_i32 s1, 0, s0
	s_max_i32 s6, s0, 0
	v_max_i32_e32 v0, s0, v2
	s_load_dwordx2 s[2:3], s[4:5], 0x0
	s_add_i32 s0, s0, s12
	s_max_i32 s1, s1, 0
	s_add_i32 s0, s0, -1
	v_min_i32_e32 v0, s0, v0
	s_sub_i32 s0, s1, s6
	v_add_u32_e32 v4, s0, v0
	s_mul_i32 s0, s15, s8
	s_mul_hi_u32 s1, s14, s8
	s_add_i32 s1, s1, s0
	s_mul_i32 s0, s14, s8
	s_waitcnt lgkmcnt(0)
	s_add_u32 s0, s2, s0
	s_addc_u32 s1, s3, s1
	s_mul_i32 s2, s17, s9
	s_mul_hi_u32 s3, s16, s9
	s_add_i32 s3, s3, s2
	s_mul_i32 s2, s16, s9
	s_add_u32 s0, s0, s2
	v_ashrrev_i32_e32 v0, 31, v4
	s_addc_u32 s1, s1, s3
	v_mul_lo_u32 v5, s18, v0
	v_mov_b32_e32 v0, s0
	v_mov_b32_e32 v1, s1
	v_mad_u64_u32 v[0:1], s[0:1], s18, v4, v[0:1]
	v_mul_lo_u32 v4, s19, v4
	v_mul_lo_u32 v3, s10, v3
	v_add3_u32 v1, v4, v1, v5
	global_load_ubyte v4, v[0:1], off
	s_load_dwordx4 s[0:3], s[4:5], 0x58
	s_load_dwordx2 s[6:7], s[4:5], 0x38
	s_waitcnt lgkmcnt(0)
	s_mul_i32 s1, s1, s8
	s_mul_hi_u32 s4, s0, s8
	s_add_i32 s4, s4, s1
	s_mul_i32 s0, s0, s8
	s_add_u32 s0, s6, s0
	s_addc_u32 s1, s7, s4
	s_mul_i32 s3, s3, s9
	s_mul_hi_u32 s4, s2, s9
	s_add_i32 s4, s4, s3
	s_mul_i32 s2, s2, s9
	s_add_u32 s0, s0, s2
	s_addc_u32 s1, s1, s4
	v_mov_b32_e32 v0, s0
	v_mov_b32_e32 v1, s1
	v_mad_u64_u32 v[0:1], s[0:1], s10, v2, v[0:1]
	v_mul_lo_u32 v2, s11, v2
	v_add3_u32 v1, v2, v1, v3
	s_waitcnt vmcnt(0)
	global_store_byte v[0:1], v4, off
.LBB12_6:
	s_endpgm
	.section	.rodata,"a",@progbits
	.p2align	6, 0x0
	.amdhsa_kernel _ZN2at6native12_GLOBAL__N_132replication_pad_forward_kernel1dIhEEvN5torch10headeronly6detail27GenericPackedTensorAccessorINS5_14TensorAccessorIN3c108ArrayRefIlEEKT_Lm2ENS4_16DefaultPtrTraitsElEENS_6detail16IndexBoundsCheckILm3ElEESC_Lm3ESD_lEENS6_INS7_ISA_SB_Lm2ESD_lEESH_SB_Lm3ESD_lEEiii
		.amdhsa_group_segment_fixed_size 0
		.amdhsa_private_segment_fixed_size 0
		.amdhsa_kernarg_size 384
		.amdhsa_user_sgpr_count 6
		.amdhsa_user_sgpr_private_segment_buffer 1
		.amdhsa_user_sgpr_dispatch_ptr 0
		.amdhsa_user_sgpr_queue_ptr 0
		.amdhsa_user_sgpr_kernarg_segment_ptr 1
		.amdhsa_user_sgpr_dispatch_id 0
		.amdhsa_user_sgpr_flat_scratch_init 0
		.amdhsa_user_sgpr_private_segment_size 0
		.amdhsa_uses_dynamic_stack 0
		.amdhsa_system_sgpr_private_segment_wavefront_offset 0
		.amdhsa_system_sgpr_workgroup_id_x 1
		.amdhsa_system_sgpr_workgroup_id_y 1
		.amdhsa_system_sgpr_workgroup_id_z 1
		.amdhsa_system_sgpr_workgroup_info 0
		.amdhsa_system_vgpr_workitem_id 0
		.amdhsa_next_free_vgpr 9
		.amdhsa_next_free_sgpr 20
		.amdhsa_reserve_vcc 1
		.amdhsa_reserve_flat_scratch 0
		.amdhsa_float_round_mode_32 0
		.amdhsa_float_round_mode_16_64 0
		.amdhsa_float_denorm_mode_32 3
		.amdhsa_float_denorm_mode_16_64 3
		.amdhsa_dx10_clamp 1
		.amdhsa_ieee_mode 1
		.amdhsa_fp16_overflow 0
		.amdhsa_exception_fp_ieee_invalid_op 0
		.amdhsa_exception_fp_denorm_src 0
		.amdhsa_exception_fp_ieee_div_zero 0
		.amdhsa_exception_fp_ieee_overflow 0
		.amdhsa_exception_fp_ieee_underflow 0
		.amdhsa_exception_fp_ieee_inexact 0
		.amdhsa_exception_int_div_zero 0
	.end_amdhsa_kernel
	.section	.text._ZN2at6native12_GLOBAL__N_132replication_pad_forward_kernel1dIhEEvN5torch10headeronly6detail27GenericPackedTensorAccessorINS5_14TensorAccessorIN3c108ArrayRefIlEEKT_Lm2ENS4_16DefaultPtrTraitsElEENS_6detail16IndexBoundsCheckILm3ElEESC_Lm3ESD_lEENS6_INS7_ISA_SB_Lm2ESD_lEESH_SB_Lm3ESD_lEEiii,"axG",@progbits,_ZN2at6native12_GLOBAL__N_132replication_pad_forward_kernel1dIhEEvN5torch10headeronly6detail27GenericPackedTensorAccessorINS5_14TensorAccessorIN3c108ArrayRefIlEEKT_Lm2ENS4_16DefaultPtrTraitsElEENS_6detail16IndexBoundsCheckILm3ElEESC_Lm3ESD_lEENS6_INS7_ISA_SB_Lm2ESD_lEESH_SB_Lm3ESD_lEEiii,comdat
.Lfunc_end12:
	.size	_ZN2at6native12_GLOBAL__N_132replication_pad_forward_kernel1dIhEEvN5torch10headeronly6detail27GenericPackedTensorAccessorINS5_14TensorAccessorIN3c108ArrayRefIlEEKT_Lm2ENS4_16DefaultPtrTraitsElEENS_6detail16IndexBoundsCheckILm3ElEESC_Lm3ESD_lEENS6_INS7_ISA_SB_Lm2ESD_lEESH_SB_Lm3ESD_lEEiii, .Lfunc_end12-_ZN2at6native12_GLOBAL__N_132replication_pad_forward_kernel1dIhEEvN5torch10headeronly6detail27GenericPackedTensorAccessorINS5_14TensorAccessorIN3c108ArrayRefIlEEKT_Lm2ENS4_16DefaultPtrTraitsElEENS_6detail16IndexBoundsCheckILm3ElEESC_Lm3ESD_lEENS6_INS7_ISA_SB_Lm2ESD_lEESH_SB_Lm3ESD_lEEiii
                                        ; -- End function
	.set _ZN2at6native12_GLOBAL__N_132replication_pad_forward_kernel1dIhEEvN5torch10headeronly6detail27GenericPackedTensorAccessorINS5_14TensorAccessorIN3c108ArrayRefIlEEKT_Lm2ENS4_16DefaultPtrTraitsElEENS_6detail16IndexBoundsCheckILm3ElEESC_Lm3ESD_lEENS6_INS7_ISA_SB_Lm2ESD_lEESH_SB_Lm3ESD_lEEiii.num_vgpr, 9
	.set _ZN2at6native12_GLOBAL__N_132replication_pad_forward_kernel1dIhEEvN5torch10headeronly6detail27GenericPackedTensorAccessorINS5_14TensorAccessorIN3c108ArrayRefIlEEKT_Lm2ENS4_16DefaultPtrTraitsElEENS_6detail16IndexBoundsCheckILm3ElEESC_Lm3ESD_lEENS6_INS7_ISA_SB_Lm2ESD_lEESH_SB_Lm3ESD_lEEiii.num_agpr, 0
	.set _ZN2at6native12_GLOBAL__N_132replication_pad_forward_kernel1dIhEEvN5torch10headeronly6detail27GenericPackedTensorAccessorINS5_14TensorAccessorIN3c108ArrayRefIlEEKT_Lm2ENS4_16DefaultPtrTraitsElEENS_6detail16IndexBoundsCheckILm3ElEESC_Lm3ESD_lEENS6_INS7_ISA_SB_Lm2ESD_lEESH_SB_Lm3ESD_lEEiii.numbered_sgpr, 20
	.set _ZN2at6native12_GLOBAL__N_132replication_pad_forward_kernel1dIhEEvN5torch10headeronly6detail27GenericPackedTensorAccessorINS5_14TensorAccessorIN3c108ArrayRefIlEEKT_Lm2ENS4_16DefaultPtrTraitsElEENS_6detail16IndexBoundsCheckILm3ElEESC_Lm3ESD_lEENS6_INS7_ISA_SB_Lm2ESD_lEESH_SB_Lm3ESD_lEEiii.num_named_barrier, 0
	.set _ZN2at6native12_GLOBAL__N_132replication_pad_forward_kernel1dIhEEvN5torch10headeronly6detail27GenericPackedTensorAccessorINS5_14TensorAccessorIN3c108ArrayRefIlEEKT_Lm2ENS4_16DefaultPtrTraitsElEENS_6detail16IndexBoundsCheckILm3ElEESC_Lm3ESD_lEENS6_INS7_ISA_SB_Lm2ESD_lEESH_SB_Lm3ESD_lEEiii.private_seg_size, 0
	.set _ZN2at6native12_GLOBAL__N_132replication_pad_forward_kernel1dIhEEvN5torch10headeronly6detail27GenericPackedTensorAccessorINS5_14TensorAccessorIN3c108ArrayRefIlEEKT_Lm2ENS4_16DefaultPtrTraitsElEENS_6detail16IndexBoundsCheckILm3ElEESC_Lm3ESD_lEENS6_INS7_ISA_SB_Lm2ESD_lEESH_SB_Lm3ESD_lEEiii.uses_vcc, 1
	.set _ZN2at6native12_GLOBAL__N_132replication_pad_forward_kernel1dIhEEvN5torch10headeronly6detail27GenericPackedTensorAccessorINS5_14TensorAccessorIN3c108ArrayRefIlEEKT_Lm2ENS4_16DefaultPtrTraitsElEENS_6detail16IndexBoundsCheckILm3ElEESC_Lm3ESD_lEENS6_INS7_ISA_SB_Lm2ESD_lEESH_SB_Lm3ESD_lEEiii.uses_flat_scratch, 0
	.set _ZN2at6native12_GLOBAL__N_132replication_pad_forward_kernel1dIhEEvN5torch10headeronly6detail27GenericPackedTensorAccessorINS5_14TensorAccessorIN3c108ArrayRefIlEEKT_Lm2ENS4_16DefaultPtrTraitsElEENS_6detail16IndexBoundsCheckILm3ElEESC_Lm3ESD_lEENS6_INS7_ISA_SB_Lm2ESD_lEESH_SB_Lm3ESD_lEEiii.has_dyn_sized_stack, 0
	.set _ZN2at6native12_GLOBAL__N_132replication_pad_forward_kernel1dIhEEvN5torch10headeronly6detail27GenericPackedTensorAccessorINS5_14TensorAccessorIN3c108ArrayRefIlEEKT_Lm2ENS4_16DefaultPtrTraitsElEENS_6detail16IndexBoundsCheckILm3ElEESC_Lm3ESD_lEENS6_INS7_ISA_SB_Lm2ESD_lEESH_SB_Lm3ESD_lEEiii.has_recursion, 0
	.set _ZN2at6native12_GLOBAL__N_132replication_pad_forward_kernel1dIhEEvN5torch10headeronly6detail27GenericPackedTensorAccessorINS5_14TensorAccessorIN3c108ArrayRefIlEEKT_Lm2ENS4_16DefaultPtrTraitsElEENS_6detail16IndexBoundsCheckILm3ElEESC_Lm3ESD_lEENS6_INS7_ISA_SB_Lm2ESD_lEESH_SB_Lm3ESD_lEEiii.has_indirect_call, 0
	.section	.AMDGPU.csdata,"",@progbits
; Kernel info:
; codeLenInByte = 1036
; TotalNumSgprs: 24
; NumVgprs: 9
; ScratchSize: 0
; MemoryBound: 0
; FloatMode: 240
; IeeeMode: 1
; LDSByteSize: 0 bytes/workgroup (compile time only)
; SGPRBlocks: 2
; VGPRBlocks: 2
; NumSGPRsForWavesPerEU: 24
; NumVGPRsForWavesPerEU: 9
; Occupancy: 10
; WaveLimiterHint : 1
; COMPUTE_PGM_RSRC2:SCRATCH_EN: 0
; COMPUTE_PGM_RSRC2:USER_SGPR: 6
; COMPUTE_PGM_RSRC2:TRAP_HANDLER: 0
; COMPUTE_PGM_RSRC2:TGID_X_EN: 1
; COMPUTE_PGM_RSRC2:TGID_Y_EN: 1
; COMPUTE_PGM_RSRC2:TGID_Z_EN: 1
; COMPUTE_PGM_RSRC2:TIDIG_COMP_CNT: 0
	.section	.text._ZN2at6native12_GLOBAL__N_132replication_pad_forward_kernel1dIaEEvN5torch10headeronly6detail27GenericPackedTensorAccessorINS5_14TensorAccessorIN3c108ArrayRefIlEEKT_Lm2ENS4_16DefaultPtrTraitsElEENS_6detail16IndexBoundsCheckILm3ElEESC_Lm3ESD_lEENS6_INS7_ISA_SB_Lm2ESD_lEESH_SB_Lm3ESD_lEEiii,"axG",@progbits,_ZN2at6native12_GLOBAL__N_132replication_pad_forward_kernel1dIaEEvN5torch10headeronly6detail27GenericPackedTensorAccessorINS5_14TensorAccessorIN3c108ArrayRefIlEEKT_Lm2ENS4_16DefaultPtrTraitsElEENS_6detail16IndexBoundsCheckILm3ElEESC_Lm3ESD_lEENS6_INS7_ISA_SB_Lm2ESD_lEESH_SB_Lm3ESD_lEEiii,comdat
	.globl	_ZN2at6native12_GLOBAL__N_132replication_pad_forward_kernel1dIaEEvN5torch10headeronly6detail27GenericPackedTensorAccessorINS5_14TensorAccessorIN3c108ArrayRefIlEEKT_Lm2ENS4_16DefaultPtrTraitsElEENS_6detail16IndexBoundsCheckILm3ElEESC_Lm3ESD_lEENS6_INS7_ISA_SB_Lm2ESD_lEESH_SB_Lm3ESD_lEEiii ; -- Begin function _ZN2at6native12_GLOBAL__N_132replication_pad_forward_kernel1dIaEEvN5torch10headeronly6detail27GenericPackedTensorAccessorINS5_14TensorAccessorIN3c108ArrayRefIlEEKT_Lm2ENS4_16DefaultPtrTraitsElEENS_6detail16IndexBoundsCheckILm3ElEESC_Lm3ESD_lEENS6_INS7_ISA_SB_Lm2ESD_lEESH_SB_Lm3ESD_lEEiii
	.p2align	8
	.type	_ZN2at6native12_GLOBAL__N_132replication_pad_forward_kernel1dIaEEvN5torch10headeronly6detail27GenericPackedTensorAccessorINS5_14TensorAccessorIN3c108ArrayRefIlEEKT_Lm2ENS4_16DefaultPtrTraitsElEENS_6detail16IndexBoundsCheckILm3ElEESC_Lm3ESD_lEENS6_INS7_ISA_SB_Lm2ESD_lEESH_SB_Lm3ESD_lEEiii,@function
_ZN2at6native12_GLOBAL__N_132replication_pad_forward_kernel1dIaEEvN5torch10headeronly6detail27GenericPackedTensorAccessorINS5_14TensorAccessorIN3c108ArrayRefIlEEKT_Lm2ENS4_16DefaultPtrTraitsElEENS_6detail16IndexBoundsCheckILm3ElEESC_Lm3ESD_lEENS6_INS7_ISA_SB_Lm2ESD_lEESH_SB_Lm3ESD_lEEiii: ; @_ZN2at6native12_GLOBAL__N_132replication_pad_forward_kernel1dIaEEvN5torch10headeronly6detail27GenericPackedTensorAccessorINS5_14TensorAccessorIN3c108ArrayRefIlEEKT_Lm2ENS4_16DefaultPtrTraitsElEENS_6detail16IndexBoundsCheckILm3ElEESC_Lm3ESD_lEENS6_INS7_ISA_SB_Lm2ESD_lEESH_SB_Lm3ESD_lEEiii
; %bb.0:
	s_load_dword s0, s[4:5], 0x8c
	s_load_dwordx2 s[10:11], s[4:5], 0x50
	v_mov_b32_e32 v2, 0
	v_mov_b32_e32 v1, v2
	;; [unrolled: 1-line block ×3, first 2 shown]
	s_waitcnt lgkmcnt(0)
	s_and_b32 s0, s0, 0xffff
	v_mad_u64_u32 v[0:1], s[0:1], s0, v3, v[0:1]
	v_cmp_gt_i64_e32 vcc, s[10:11], v[0:1]
	s_and_saveexec_b64 s[0:1], vcc
	s_cbranch_execz .LBB13_6
; %bb.1:
	v_or_b32_e32 v3, s11, v1
	v_cmp_ne_u64_e32 vcc, 0, v[2:3]
                                        ; implicit-def: $vgpr2_vgpr3
	s_and_saveexec_b64 s[0:1], vcc
	s_xor_b64 s[12:13], exec, s[0:1]
	s_cbranch_execz .LBB13_3
; %bb.2:
	v_cvt_f32_u32_e32 v2, s10
	v_cvt_f32_u32_e32 v3, s11
	s_sub_u32 s2, 0, s10
	s_subb_u32 s3, 0, s11
	v_madmk_f32 v2, v3, 0x4f800000, v2
	v_rcp_f32_e32 v2, v2
	v_mul_f32_e32 v2, 0x5f7ffffc, v2
	v_mul_f32_e32 v3, 0x2f800000, v2
	v_trunc_f32_e32 v3, v3
	v_madmk_f32 v2, v3, 0xcf800000, v2
	v_cvt_u32_f32_e32 v3, v3
	v_cvt_u32_f32_e32 v2, v2
	v_readfirstlane_b32 s6, v3
	v_readfirstlane_b32 s0, v2
	s_mul_i32 s1, s2, s6
	s_mul_hi_u32 s14, s2, s0
	s_mul_i32 s9, s3, s0
	s_add_i32 s1, s14, s1
	s_mul_i32 s15, s2, s0
	s_add_i32 s1, s1, s9
	s_mul_i32 s14, s0, s1
	s_mul_hi_u32 s16, s0, s15
	s_mul_hi_u32 s9, s0, s1
	s_add_u32 s14, s16, s14
	s_addc_u32 s9, 0, s9
	s_mul_hi_u32 s17, s6, s15
	s_mul_i32 s15, s6, s15
	s_add_u32 s14, s14, s15
	s_mul_hi_u32 s16, s6, s1
	s_addc_u32 s9, s9, s17
	s_addc_u32 s14, s16, 0
	s_mul_i32 s1, s6, s1
	s_add_u32 s1, s9, s1
	s_addc_u32 s9, 0, s14
	s_add_u32 s14, s0, s1
	s_cselect_b64 s[0:1], -1, 0
	s_cmp_lg_u64 s[0:1], 0
	s_addc_u32 s6, s6, s9
	s_mul_i32 s0, s2, s6
	s_mul_hi_u32 s1, s2, s14
	s_add_i32 s0, s1, s0
	s_mul_i32 s3, s3, s14
	s_add_i32 s0, s0, s3
	s_mul_i32 s2, s2, s14
	s_mul_hi_u32 s3, s6, s2
	s_mul_i32 s9, s6, s2
	s_mul_i32 s16, s14, s0
	s_mul_hi_u32 s2, s14, s2
	s_mul_hi_u32 s15, s14, s0
	s_add_u32 s2, s2, s16
	s_addc_u32 s15, 0, s15
	s_add_u32 s2, s2, s9
	s_mul_hi_u32 s1, s6, s0
	s_addc_u32 s2, s15, s3
	s_addc_u32 s1, s1, 0
	s_mul_i32 s0, s6, s0
	s_add_u32 s0, s2, s0
	s_addc_u32 s2, 0, s1
	s_add_u32 s3, s14, s0
	s_cselect_b64 s[0:1], -1, 0
	s_cmp_lg_u64 s[0:1], 0
	s_addc_u32 s2, s6, s2
	v_mad_u64_u32 v[2:3], s[0:1], v0, s2, 0
	v_mul_hi_u32 v4, v0, s3
	v_add_co_u32_e32 v6, vcc, v4, v2
	v_addc_co_u32_e32 v7, vcc, 0, v3, vcc
	v_mad_u64_u32 v[2:3], s[0:1], v1, s3, 0
	v_mad_u64_u32 v[4:5], s[0:1], v1, s2, 0
	v_add_co_u32_e32 v2, vcc, v6, v2
	v_addc_co_u32_e32 v2, vcc, v7, v3, vcc
	v_addc_co_u32_e32 v3, vcc, 0, v5, vcc
	v_add_co_u32_e32 v2, vcc, v2, v4
	v_addc_co_u32_e32 v3, vcc, 0, v3, vcc
	v_mul_lo_u32 v4, s11, v2
	v_mul_lo_u32 v5, s10, v3
	v_mad_u64_u32 v[2:3], s[0:1], s10, v2, 0
	v_add3_u32 v3, v3, v5, v4
	v_sub_u32_e32 v4, v1, v3
	v_mov_b32_e32 v5, s11
	v_sub_co_u32_e32 v0, vcc, v0, v2
	v_subb_co_u32_e64 v2, s[0:1], v4, v5, vcc
	v_subrev_co_u32_e64 v4, s[0:1], s10, v0
	v_subbrev_co_u32_e64 v6, s[2:3], 0, v2, s[0:1]
	v_cmp_le_u32_e64 s[2:3], s11, v6
	v_cndmask_b32_e64 v7, 0, -1, s[2:3]
	v_cmp_le_u32_e64 s[2:3], s10, v4
	v_subb_co_u32_e64 v2, s[0:1], v2, v5, s[0:1]
	v_cndmask_b32_e64 v8, 0, -1, s[2:3]
	v_cmp_eq_u32_e64 s[2:3], s11, v6
	v_subrev_co_u32_e64 v5, s[0:1], s10, v4
	v_subb_co_u32_e32 v1, vcc, v1, v3, vcc
	v_cndmask_b32_e64 v7, v7, v8, s[2:3]
	v_subbrev_co_u32_e64 v2, s[0:1], 0, v2, s[0:1]
	v_cmp_le_u32_e32 vcc, s11, v1
	v_cmp_ne_u32_e64 s[0:1], 0, v7
	v_cndmask_b32_e64 v3, 0, -1, vcc
	v_cmp_le_u32_e32 vcc, s10, v0
	v_cndmask_b32_e64 v2, v6, v2, s[0:1]
	v_cndmask_b32_e64 v6, 0, -1, vcc
	v_cmp_eq_u32_e32 vcc, s11, v1
	v_cndmask_b32_e32 v3, v3, v6, vcc
	v_cmp_ne_u32_e32 vcc, 0, v3
	v_cndmask_b32_e32 v3, v1, v2, vcc
	v_cndmask_b32_e64 v1, v4, v5, s[0:1]
	v_cndmask_b32_e32 v2, v0, v1, vcc
                                        ; implicit-def: $vgpr0_vgpr1
.LBB13_3:
	s_andn2_saveexec_b64 s[0:1], s[12:13]
	s_cbranch_execz .LBB13_5
; %bb.4:
	v_cvt_f32_u32_e32 v1, s10
	s_sub_i32 s2, 0, s10
	v_mov_b32_e32 v3, 0
	v_rcp_iflag_f32_e32 v1, v1
	v_mul_f32_e32 v1, 0x4f7ffffe, v1
	v_cvt_u32_f32_e32 v1, v1
	v_mul_lo_u32 v2, s2, v1
	v_mul_hi_u32 v2, v1, v2
	v_add_u32_e32 v1, v1, v2
	v_mul_hi_u32 v1, v0, v1
	v_mul_lo_u32 v1, v1, s10
	v_sub_u32_e32 v0, v0, v1
	v_subrev_u32_e32 v1, s10, v0
	v_cmp_le_u32_e32 vcc, s10, v0
	v_cndmask_b32_e32 v0, v0, v1, vcc
	v_subrev_u32_e32 v1, s10, v0
	v_cmp_le_u32_e32 vcc, s10, v0
	v_cndmask_b32_e32 v2, v0, v1, vcc
.LBB13_5:
	s_or_b64 exec, exec, s[0:1]
	s_load_dwordx4 s[0:3], s[4:5], 0x70
	s_load_dwordx8 s[12:19], s[4:5], 0x18
	s_load_dwordx2 s[10:11], s[4:5], 0x68
	s_waitcnt lgkmcnt(0)
	s_add_i32 s8, s2, s8
	s_add_i32 s9, s1, s7
	s_sub_i32 s1, 0, s0
	s_max_i32 s6, s0, 0
	v_max_i32_e32 v0, s0, v2
	s_load_dwordx2 s[2:3], s[4:5], 0x0
	s_add_i32 s0, s0, s12
	s_max_i32 s1, s1, 0
	s_add_i32 s0, s0, -1
	v_min_i32_e32 v0, s0, v0
	s_sub_i32 s0, s1, s6
	v_add_u32_e32 v4, s0, v0
	s_mul_i32 s0, s15, s8
	s_mul_hi_u32 s1, s14, s8
	s_add_i32 s1, s1, s0
	s_mul_i32 s0, s14, s8
	s_waitcnt lgkmcnt(0)
	s_add_u32 s0, s2, s0
	s_addc_u32 s1, s3, s1
	s_mul_i32 s2, s17, s9
	s_mul_hi_u32 s3, s16, s9
	s_add_i32 s3, s3, s2
	s_mul_i32 s2, s16, s9
	s_add_u32 s0, s0, s2
	v_ashrrev_i32_e32 v0, 31, v4
	s_addc_u32 s1, s1, s3
	v_mul_lo_u32 v5, s18, v0
	v_mov_b32_e32 v0, s0
	v_mov_b32_e32 v1, s1
	v_mad_u64_u32 v[0:1], s[0:1], s18, v4, v[0:1]
	v_mul_lo_u32 v4, s19, v4
	v_mul_lo_u32 v3, s10, v3
	v_add3_u32 v1, v4, v1, v5
	global_load_ubyte v4, v[0:1], off
	s_load_dwordx4 s[0:3], s[4:5], 0x58
	s_load_dwordx2 s[6:7], s[4:5], 0x38
	s_waitcnt lgkmcnt(0)
	s_mul_i32 s1, s1, s8
	s_mul_hi_u32 s4, s0, s8
	s_add_i32 s4, s4, s1
	s_mul_i32 s0, s0, s8
	s_add_u32 s0, s6, s0
	s_addc_u32 s1, s7, s4
	s_mul_i32 s3, s3, s9
	s_mul_hi_u32 s4, s2, s9
	s_add_i32 s4, s4, s3
	s_mul_i32 s2, s2, s9
	s_add_u32 s0, s0, s2
	s_addc_u32 s1, s1, s4
	v_mov_b32_e32 v0, s0
	v_mov_b32_e32 v1, s1
	v_mad_u64_u32 v[0:1], s[0:1], s10, v2, v[0:1]
	v_mul_lo_u32 v2, s11, v2
	v_add3_u32 v1, v2, v1, v3
	s_waitcnt vmcnt(0)
	global_store_byte v[0:1], v4, off
.LBB13_6:
	s_endpgm
	.section	.rodata,"a",@progbits
	.p2align	6, 0x0
	.amdhsa_kernel _ZN2at6native12_GLOBAL__N_132replication_pad_forward_kernel1dIaEEvN5torch10headeronly6detail27GenericPackedTensorAccessorINS5_14TensorAccessorIN3c108ArrayRefIlEEKT_Lm2ENS4_16DefaultPtrTraitsElEENS_6detail16IndexBoundsCheckILm3ElEESC_Lm3ESD_lEENS6_INS7_ISA_SB_Lm2ESD_lEESH_SB_Lm3ESD_lEEiii
		.amdhsa_group_segment_fixed_size 0
		.amdhsa_private_segment_fixed_size 0
		.amdhsa_kernarg_size 384
		.amdhsa_user_sgpr_count 6
		.amdhsa_user_sgpr_private_segment_buffer 1
		.amdhsa_user_sgpr_dispatch_ptr 0
		.amdhsa_user_sgpr_queue_ptr 0
		.amdhsa_user_sgpr_kernarg_segment_ptr 1
		.amdhsa_user_sgpr_dispatch_id 0
		.amdhsa_user_sgpr_flat_scratch_init 0
		.amdhsa_user_sgpr_private_segment_size 0
		.amdhsa_uses_dynamic_stack 0
		.amdhsa_system_sgpr_private_segment_wavefront_offset 0
		.amdhsa_system_sgpr_workgroup_id_x 1
		.amdhsa_system_sgpr_workgroup_id_y 1
		.amdhsa_system_sgpr_workgroup_id_z 1
		.amdhsa_system_sgpr_workgroup_info 0
		.amdhsa_system_vgpr_workitem_id 0
		.amdhsa_next_free_vgpr 9
		.amdhsa_next_free_sgpr 20
		.amdhsa_reserve_vcc 1
		.amdhsa_reserve_flat_scratch 0
		.amdhsa_float_round_mode_32 0
		.amdhsa_float_round_mode_16_64 0
		.amdhsa_float_denorm_mode_32 3
		.amdhsa_float_denorm_mode_16_64 3
		.amdhsa_dx10_clamp 1
		.amdhsa_ieee_mode 1
		.amdhsa_fp16_overflow 0
		.amdhsa_exception_fp_ieee_invalid_op 0
		.amdhsa_exception_fp_denorm_src 0
		.amdhsa_exception_fp_ieee_div_zero 0
		.amdhsa_exception_fp_ieee_overflow 0
		.amdhsa_exception_fp_ieee_underflow 0
		.amdhsa_exception_fp_ieee_inexact 0
		.amdhsa_exception_int_div_zero 0
	.end_amdhsa_kernel
	.section	.text._ZN2at6native12_GLOBAL__N_132replication_pad_forward_kernel1dIaEEvN5torch10headeronly6detail27GenericPackedTensorAccessorINS5_14TensorAccessorIN3c108ArrayRefIlEEKT_Lm2ENS4_16DefaultPtrTraitsElEENS_6detail16IndexBoundsCheckILm3ElEESC_Lm3ESD_lEENS6_INS7_ISA_SB_Lm2ESD_lEESH_SB_Lm3ESD_lEEiii,"axG",@progbits,_ZN2at6native12_GLOBAL__N_132replication_pad_forward_kernel1dIaEEvN5torch10headeronly6detail27GenericPackedTensorAccessorINS5_14TensorAccessorIN3c108ArrayRefIlEEKT_Lm2ENS4_16DefaultPtrTraitsElEENS_6detail16IndexBoundsCheckILm3ElEESC_Lm3ESD_lEENS6_INS7_ISA_SB_Lm2ESD_lEESH_SB_Lm3ESD_lEEiii,comdat
.Lfunc_end13:
	.size	_ZN2at6native12_GLOBAL__N_132replication_pad_forward_kernel1dIaEEvN5torch10headeronly6detail27GenericPackedTensorAccessorINS5_14TensorAccessorIN3c108ArrayRefIlEEKT_Lm2ENS4_16DefaultPtrTraitsElEENS_6detail16IndexBoundsCheckILm3ElEESC_Lm3ESD_lEENS6_INS7_ISA_SB_Lm2ESD_lEESH_SB_Lm3ESD_lEEiii, .Lfunc_end13-_ZN2at6native12_GLOBAL__N_132replication_pad_forward_kernel1dIaEEvN5torch10headeronly6detail27GenericPackedTensorAccessorINS5_14TensorAccessorIN3c108ArrayRefIlEEKT_Lm2ENS4_16DefaultPtrTraitsElEENS_6detail16IndexBoundsCheckILm3ElEESC_Lm3ESD_lEENS6_INS7_ISA_SB_Lm2ESD_lEESH_SB_Lm3ESD_lEEiii
                                        ; -- End function
	.set _ZN2at6native12_GLOBAL__N_132replication_pad_forward_kernel1dIaEEvN5torch10headeronly6detail27GenericPackedTensorAccessorINS5_14TensorAccessorIN3c108ArrayRefIlEEKT_Lm2ENS4_16DefaultPtrTraitsElEENS_6detail16IndexBoundsCheckILm3ElEESC_Lm3ESD_lEENS6_INS7_ISA_SB_Lm2ESD_lEESH_SB_Lm3ESD_lEEiii.num_vgpr, 9
	.set _ZN2at6native12_GLOBAL__N_132replication_pad_forward_kernel1dIaEEvN5torch10headeronly6detail27GenericPackedTensorAccessorINS5_14TensorAccessorIN3c108ArrayRefIlEEKT_Lm2ENS4_16DefaultPtrTraitsElEENS_6detail16IndexBoundsCheckILm3ElEESC_Lm3ESD_lEENS6_INS7_ISA_SB_Lm2ESD_lEESH_SB_Lm3ESD_lEEiii.num_agpr, 0
	.set _ZN2at6native12_GLOBAL__N_132replication_pad_forward_kernel1dIaEEvN5torch10headeronly6detail27GenericPackedTensorAccessorINS5_14TensorAccessorIN3c108ArrayRefIlEEKT_Lm2ENS4_16DefaultPtrTraitsElEENS_6detail16IndexBoundsCheckILm3ElEESC_Lm3ESD_lEENS6_INS7_ISA_SB_Lm2ESD_lEESH_SB_Lm3ESD_lEEiii.numbered_sgpr, 20
	.set _ZN2at6native12_GLOBAL__N_132replication_pad_forward_kernel1dIaEEvN5torch10headeronly6detail27GenericPackedTensorAccessorINS5_14TensorAccessorIN3c108ArrayRefIlEEKT_Lm2ENS4_16DefaultPtrTraitsElEENS_6detail16IndexBoundsCheckILm3ElEESC_Lm3ESD_lEENS6_INS7_ISA_SB_Lm2ESD_lEESH_SB_Lm3ESD_lEEiii.num_named_barrier, 0
	.set _ZN2at6native12_GLOBAL__N_132replication_pad_forward_kernel1dIaEEvN5torch10headeronly6detail27GenericPackedTensorAccessorINS5_14TensorAccessorIN3c108ArrayRefIlEEKT_Lm2ENS4_16DefaultPtrTraitsElEENS_6detail16IndexBoundsCheckILm3ElEESC_Lm3ESD_lEENS6_INS7_ISA_SB_Lm2ESD_lEESH_SB_Lm3ESD_lEEiii.private_seg_size, 0
	.set _ZN2at6native12_GLOBAL__N_132replication_pad_forward_kernel1dIaEEvN5torch10headeronly6detail27GenericPackedTensorAccessorINS5_14TensorAccessorIN3c108ArrayRefIlEEKT_Lm2ENS4_16DefaultPtrTraitsElEENS_6detail16IndexBoundsCheckILm3ElEESC_Lm3ESD_lEENS6_INS7_ISA_SB_Lm2ESD_lEESH_SB_Lm3ESD_lEEiii.uses_vcc, 1
	.set _ZN2at6native12_GLOBAL__N_132replication_pad_forward_kernel1dIaEEvN5torch10headeronly6detail27GenericPackedTensorAccessorINS5_14TensorAccessorIN3c108ArrayRefIlEEKT_Lm2ENS4_16DefaultPtrTraitsElEENS_6detail16IndexBoundsCheckILm3ElEESC_Lm3ESD_lEENS6_INS7_ISA_SB_Lm2ESD_lEESH_SB_Lm3ESD_lEEiii.uses_flat_scratch, 0
	.set _ZN2at6native12_GLOBAL__N_132replication_pad_forward_kernel1dIaEEvN5torch10headeronly6detail27GenericPackedTensorAccessorINS5_14TensorAccessorIN3c108ArrayRefIlEEKT_Lm2ENS4_16DefaultPtrTraitsElEENS_6detail16IndexBoundsCheckILm3ElEESC_Lm3ESD_lEENS6_INS7_ISA_SB_Lm2ESD_lEESH_SB_Lm3ESD_lEEiii.has_dyn_sized_stack, 0
	.set _ZN2at6native12_GLOBAL__N_132replication_pad_forward_kernel1dIaEEvN5torch10headeronly6detail27GenericPackedTensorAccessorINS5_14TensorAccessorIN3c108ArrayRefIlEEKT_Lm2ENS4_16DefaultPtrTraitsElEENS_6detail16IndexBoundsCheckILm3ElEESC_Lm3ESD_lEENS6_INS7_ISA_SB_Lm2ESD_lEESH_SB_Lm3ESD_lEEiii.has_recursion, 0
	.set _ZN2at6native12_GLOBAL__N_132replication_pad_forward_kernel1dIaEEvN5torch10headeronly6detail27GenericPackedTensorAccessorINS5_14TensorAccessorIN3c108ArrayRefIlEEKT_Lm2ENS4_16DefaultPtrTraitsElEENS_6detail16IndexBoundsCheckILm3ElEESC_Lm3ESD_lEENS6_INS7_ISA_SB_Lm2ESD_lEESH_SB_Lm3ESD_lEEiii.has_indirect_call, 0
	.section	.AMDGPU.csdata,"",@progbits
; Kernel info:
; codeLenInByte = 1036
; TotalNumSgprs: 24
; NumVgprs: 9
; ScratchSize: 0
; MemoryBound: 0
; FloatMode: 240
; IeeeMode: 1
; LDSByteSize: 0 bytes/workgroup (compile time only)
; SGPRBlocks: 2
; VGPRBlocks: 2
; NumSGPRsForWavesPerEU: 24
; NumVGPRsForWavesPerEU: 9
; Occupancy: 10
; WaveLimiterHint : 1
; COMPUTE_PGM_RSRC2:SCRATCH_EN: 0
; COMPUTE_PGM_RSRC2:USER_SGPR: 6
; COMPUTE_PGM_RSRC2:TRAP_HANDLER: 0
; COMPUTE_PGM_RSRC2:TGID_X_EN: 1
; COMPUTE_PGM_RSRC2:TGID_Y_EN: 1
; COMPUTE_PGM_RSRC2:TGID_Z_EN: 1
; COMPUTE_PGM_RSRC2:TIDIG_COMP_CNT: 0
	.section	.text._ZN2at6native12_GLOBAL__N_132replication_pad_forward_kernel1dIiEEvN5torch10headeronly6detail27GenericPackedTensorAccessorINS5_14TensorAccessorIN3c108ArrayRefIlEEKT_Lm2ENS4_16DefaultPtrTraitsElEENS_6detail16IndexBoundsCheckILm3ElEESC_Lm3ESD_lEENS6_INS7_ISA_SB_Lm2ESD_lEESH_SB_Lm3ESD_lEEiii,"axG",@progbits,_ZN2at6native12_GLOBAL__N_132replication_pad_forward_kernel1dIiEEvN5torch10headeronly6detail27GenericPackedTensorAccessorINS5_14TensorAccessorIN3c108ArrayRefIlEEKT_Lm2ENS4_16DefaultPtrTraitsElEENS_6detail16IndexBoundsCheckILm3ElEESC_Lm3ESD_lEENS6_INS7_ISA_SB_Lm2ESD_lEESH_SB_Lm3ESD_lEEiii,comdat
	.globl	_ZN2at6native12_GLOBAL__N_132replication_pad_forward_kernel1dIiEEvN5torch10headeronly6detail27GenericPackedTensorAccessorINS5_14TensorAccessorIN3c108ArrayRefIlEEKT_Lm2ENS4_16DefaultPtrTraitsElEENS_6detail16IndexBoundsCheckILm3ElEESC_Lm3ESD_lEENS6_INS7_ISA_SB_Lm2ESD_lEESH_SB_Lm3ESD_lEEiii ; -- Begin function _ZN2at6native12_GLOBAL__N_132replication_pad_forward_kernel1dIiEEvN5torch10headeronly6detail27GenericPackedTensorAccessorINS5_14TensorAccessorIN3c108ArrayRefIlEEKT_Lm2ENS4_16DefaultPtrTraitsElEENS_6detail16IndexBoundsCheckILm3ElEESC_Lm3ESD_lEENS6_INS7_ISA_SB_Lm2ESD_lEESH_SB_Lm3ESD_lEEiii
	.p2align	8
	.type	_ZN2at6native12_GLOBAL__N_132replication_pad_forward_kernel1dIiEEvN5torch10headeronly6detail27GenericPackedTensorAccessorINS5_14TensorAccessorIN3c108ArrayRefIlEEKT_Lm2ENS4_16DefaultPtrTraitsElEENS_6detail16IndexBoundsCheckILm3ElEESC_Lm3ESD_lEENS6_INS7_ISA_SB_Lm2ESD_lEESH_SB_Lm3ESD_lEEiii,@function
_ZN2at6native12_GLOBAL__N_132replication_pad_forward_kernel1dIiEEvN5torch10headeronly6detail27GenericPackedTensorAccessorINS5_14TensorAccessorIN3c108ArrayRefIlEEKT_Lm2ENS4_16DefaultPtrTraitsElEENS_6detail16IndexBoundsCheckILm3ElEESC_Lm3ESD_lEENS6_INS7_ISA_SB_Lm2ESD_lEESH_SB_Lm3ESD_lEEiii: ; @_ZN2at6native12_GLOBAL__N_132replication_pad_forward_kernel1dIiEEvN5torch10headeronly6detail27GenericPackedTensorAccessorINS5_14TensorAccessorIN3c108ArrayRefIlEEKT_Lm2ENS4_16DefaultPtrTraitsElEENS_6detail16IndexBoundsCheckILm3ElEESC_Lm3ESD_lEENS6_INS7_ISA_SB_Lm2ESD_lEESH_SB_Lm3ESD_lEEiii
; %bb.0:
	s_load_dword s0, s[4:5], 0x8c
	s_load_dwordx2 s[10:11], s[4:5], 0x50
	v_mov_b32_e32 v2, 0
	v_mov_b32_e32 v1, v2
	;; [unrolled: 1-line block ×3, first 2 shown]
	s_waitcnt lgkmcnt(0)
	s_and_b32 s0, s0, 0xffff
	v_mad_u64_u32 v[0:1], s[0:1], s0, v3, v[0:1]
	v_cmp_gt_i64_e32 vcc, s[10:11], v[0:1]
	s_and_saveexec_b64 s[0:1], vcc
	s_cbranch_execz .LBB14_6
; %bb.1:
	v_or_b32_e32 v3, s11, v1
	v_cmp_ne_u64_e32 vcc, 0, v[2:3]
                                        ; implicit-def: $vgpr2_vgpr3
	s_and_saveexec_b64 s[0:1], vcc
	s_xor_b64 s[12:13], exec, s[0:1]
	s_cbranch_execz .LBB14_3
; %bb.2:
	v_cvt_f32_u32_e32 v2, s10
	v_cvt_f32_u32_e32 v3, s11
	s_sub_u32 s2, 0, s10
	s_subb_u32 s3, 0, s11
	v_madmk_f32 v2, v3, 0x4f800000, v2
	v_rcp_f32_e32 v2, v2
	v_mul_f32_e32 v2, 0x5f7ffffc, v2
	v_mul_f32_e32 v3, 0x2f800000, v2
	v_trunc_f32_e32 v3, v3
	v_madmk_f32 v2, v3, 0xcf800000, v2
	v_cvt_u32_f32_e32 v3, v3
	v_cvt_u32_f32_e32 v2, v2
	v_readfirstlane_b32 s6, v3
	v_readfirstlane_b32 s0, v2
	s_mul_i32 s1, s2, s6
	s_mul_hi_u32 s14, s2, s0
	s_mul_i32 s9, s3, s0
	s_add_i32 s1, s14, s1
	s_mul_i32 s15, s2, s0
	s_add_i32 s1, s1, s9
	s_mul_i32 s14, s0, s1
	s_mul_hi_u32 s16, s0, s15
	s_mul_hi_u32 s9, s0, s1
	s_add_u32 s14, s16, s14
	s_addc_u32 s9, 0, s9
	s_mul_hi_u32 s17, s6, s15
	s_mul_i32 s15, s6, s15
	s_add_u32 s14, s14, s15
	s_mul_hi_u32 s16, s6, s1
	s_addc_u32 s9, s9, s17
	s_addc_u32 s14, s16, 0
	s_mul_i32 s1, s6, s1
	s_add_u32 s1, s9, s1
	s_addc_u32 s9, 0, s14
	s_add_u32 s14, s0, s1
	s_cselect_b64 s[0:1], -1, 0
	s_cmp_lg_u64 s[0:1], 0
	s_addc_u32 s6, s6, s9
	s_mul_i32 s0, s2, s6
	s_mul_hi_u32 s1, s2, s14
	s_add_i32 s0, s1, s0
	s_mul_i32 s3, s3, s14
	s_add_i32 s0, s0, s3
	s_mul_i32 s2, s2, s14
	s_mul_hi_u32 s3, s6, s2
	s_mul_i32 s9, s6, s2
	s_mul_i32 s16, s14, s0
	s_mul_hi_u32 s2, s14, s2
	s_mul_hi_u32 s15, s14, s0
	s_add_u32 s2, s2, s16
	s_addc_u32 s15, 0, s15
	s_add_u32 s2, s2, s9
	s_mul_hi_u32 s1, s6, s0
	s_addc_u32 s2, s15, s3
	s_addc_u32 s1, s1, 0
	s_mul_i32 s0, s6, s0
	s_add_u32 s0, s2, s0
	s_addc_u32 s2, 0, s1
	s_add_u32 s3, s14, s0
	s_cselect_b64 s[0:1], -1, 0
	s_cmp_lg_u64 s[0:1], 0
	s_addc_u32 s2, s6, s2
	v_mad_u64_u32 v[2:3], s[0:1], v0, s2, 0
	v_mul_hi_u32 v4, v0, s3
	v_add_co_u32_e32 v6, vcc, v4, v2
	v_addc_co_u32_e32 v7, vcc, 0, v3, vcc
	v_mad_u64_u32 v[2:3], s[0:1], v1, s3, 0
	v_mad_u64_u32 v[4:5], s[0:1], v1, s2, 0
	v_add_co_u32_e32 v2, vcc, v6, v2
	v_addc_co_u32_e32 v2, vcc, v7, v3, vcc
	v_addc_co_u32_e32 v3, vcc, 0, v5, vcc
	v_add_co_u32_e32 v2, vcc, v2, v4
	v_addc_co_u32_e32 v3, vcc, 0, v3, vcc
	v_mul_lo_u32 v4, s11, v2
	v_mul_lo_u32 v5, s10, v3
	v_mad_u64_u32 v[2:3], s[0:1], s10, v2, 0
	v_add3_u32 v3, v3, v5, v4
	v_sub_u32_e32 v4, v1, v3
	v_mov_b32_e32 v5, s11
	v_sub_co_u32_e32 v0, vcc, v0, v2
	v_subb_co_u32_e64 v2, s[0:1], v4, v5, vcc
	v_subrev_co_u32_e64 v4, s[0:1], s10, v0
	v_subbrev_co_u32_e64 v6, s[2:3], 0, v2, s[0:1]
	v_cmp_le_u32_e64 s[2:3], s11, v6
	v_cndmask_b32_e64 v7, 0, -1, s[2:3]
	v_cmp_le_u32_e64 s[2:3], s10, v4
	v_subb_co_u32_e64 v2, s[0:1], v2, v5, s[0:1]
	v_cndmask_b32_e64 v8, 0, -1, s[2:3]
	v_cmp_eq_u32_e64 s[2:3], s11, v6
	v_subrev_co_u32_e64 v5, s[0:1], s10, v4
	v_subb_co_u32_e32 v1, vcc, v1, v3, vcc
	v_cndmask_b32_e64 v7, v7, v8, s[2:3]
	v_subbrev_co_u32_e64 v2, s[0:1], 0, v2, s[0:1]
	v_cmp_le_u32_e32 vcc, s11, v1
	v_cmp_ne_u32_e64 s[0:1], 0, v7
	v_cndmask_b32_e64 v3, 0, -1, vcc
	v_cmp_le_u32_e32 vcc, s10, v0
	v_cndmask_b32_e64 v2, v6, v2, s[0:1]
	v_cndmask_b32_e64 v6, 0, -1, vcc
	v_cmp_eq_u32_e32 vcc, s11, v1
	v_cndmask_b32_e32 v3, v3, v6, vcc
	v_cmp_ne_u32_e32 vcc, 0, v3
	v_cndmask_b32_e32 v3, v1, v2, vcc
	v_cndmask_b32_e64 v1, v4, v5, s[0:1]
	v_cndmask_b32_e32 v2, v0, v1, vcc
                                        ; implicit-def: $vgpr0_vgpr1
.LBB14_3:
	s_andn2_saveexec_b64 s[0:1], s[12:13]
	s_cbranch_execz .LBB14_5
; %bb.4:
	v_cvt_f32_u32_e32 v1, s10
	s_sub_i32 s2, 0, s10
	v_mov_b32_e32 v3, 0
	v_rcp_iflag_f32_e32 v1, v1
	v_mul_f32_e32 v1, 0x4f7ffffe, v1
	v_cvt_u32_f32_e32 v1, v1
	v_mul_lo_u32 v2, s2, v1
	v_mul_hi_u32 v2, v1, v2
	v_add_u32_e32 v1, v1, v2
	v_mul_hi_u32 v1, v0, v1
	v_mul_lo_u32 v1, v1, s10
	v_sub_u32_e32 v0, v0, v1
	v_subrev_u32_e32 v1, s10, v0
	v_cmp_le_u32_e32 vcc, s10, v0
	v_cndmask_b32_e32 v0, v0, v1, vcc
	v_subrev_u32_e32 v1, s10, v0
	v_cmp_le_u32_e32 vcc, s10, v0
	v_cndmask_b32_e32 v2, v0, v1, vcc
.LBB14_5:
	s_or_b64 exec, exec, s[0:1]
	s_load_dwordx4 s[0:3], s[4:5], 0x70
	s_load_dwordx8 s[12:19], s[4:5], 0x18
	s_load_dwordx2 s[10:11], s[4:5], 0x68
	s_waitcnt lgkmcnt(0)
	s_add_i32 s9, s1, s7
	s_sub_i32 s1, 0, s0
	s_max_i32 s6, s0, 0
	v_max_i32_e32 v0, s0, v2
	s_add_i32 s0, s0, s12
	s_add_i32 s8, s2, s8
	s_max_i32 s1, s1, 0
	s_load_dwordx2 s[2:3], s[4:5], 0x0
	s_add_i32 s0, s0, -1
	v_min_i32_e32 v0, s0, v0
	s_sub_i32 s0, s1, s6
	v_add_u32_e32 v0, s0, v0
	s_mul_i32 s0, s15, s8
	s_mul_hi_u32 s1, s14, s8
	s_add_i32 s1, s1, s0
	s_mul_i32 s0, s14, s8
	s_lshl_b64 s[0:1], s[0:1], 2
	s_waitcnt lgkmcnt(0)
	s_add_u32 s6, s2, s0
	v_ashrrev_i32_e32 v1, 31, v0
	s_addc_u32 s7, s3, s1
	v_mul_lo_u32 v4, s18, v1
	v_mul_lo_u32 v5, s19, v0
	v_mad_u64_u32 v[0:1], s[2:3], s18, v0, 0
	s_mul_i32 s0, s17, s9
	s_mul_hi_u32 s1, s16, s9
	s_add_i32 s1, s1, s0
	s_mul_i32 s0, s16, s9
	s_lshl_b64 s[0:1], s[0:1], 2
	v_add3_u32 v1, v1, v4, v5
	s_add_u32 s0, s6, s0
	v_lshlrev_b64 v[0:1], 2, v[0:1]
	s_addc_u32 s1, s7, s1
	v_mov_b32_e32 v4, s1
	v_add_co_u32_e32 v0, vcc, s0, v0
	v_addc_co_u32_e32 v1, vcc, v4, v1, vcc
	global_load_dword v4, v[0:1], off
	s_load_dwordx4 s[0:3], s[4:5], 0x58
	s_load_dwordx2 s[6:7], s[4:5], 0x38
	v_mul_lo_u32 v5, s11, v2
	v_mul_lo_u32 v3, s10, v3
	s_waitcnt lgkmcnt(0)
	s_mul_i32 s1, s1, s8
	s_mul_hi_u32 s4, s0, s8
	s_add_i32 s1, s4, s1
	s_mul_i32 s0, s0, s8
	s_lshl_b64 s[0:1], s[0:1], 2
	s_add_u32 s4, s6, s0
	s_addc_u32 s5, s7, s1
	s_mul_i32 s0, s3, s9
	s_mul_hi_u32 s1, s2, s9
	s_add_i32 s1, s1, s0
	s_mul_i32 s0, s2, s9
	v_mad_u64_u32 v[0:1], s[2:3], s10, v2, 0
	s_lshl_b64 s[0:1], s[0:1], 2
	s_add_u32 s0, s4, s0
	v_add3_u32 v1, v1, v3, v5
	v_lshlrev_b64 v[0:1], 2, v[0:1]
	s_addc_u32 s1, s5, s1
	v_mov_b32_e32 v2, s1
	v_add_co_u32_e32 v0, vcc, s0, v0
	v_addc_co_u32_e32 v1, vcc, v2, v1, vcc
	s_waitcnt vmcnt(0)
	global_store_dword v[0:1], v4, off
.LBB14_6:
	s_endpgm
	.section	.rodata,"a",@progbits
	.p2align	6, 0x0
	.amdhsa_kernel _ZN2at6native12_GLOBAL__N_132replication_pad_forward_kernel1dIiEEvN5torch10headeronly6detail27GenericPackedTensorAccessorINS5_14TensorAccessorIN3c108ArrayRefIlEEKT_Lm2ENS4_16DefaultPtrTraitsElEENS_6detail16IndexBoundsCheckILm3ElEESC_Lm3ESD_lEENS6_INS7_ISA_SB_Lm2ESD_lEESH_SB_Lm3ESD_lEEiii
		.amdhsa_group_segment_fixed_size 0
		.amdhsa_private_segment_fixed_size 0
		.amdhsa_kernarg_size 384
		.amdhsa_user_sgpr_count 6
		.amdhsa_user_sgpr_private_segment_buffer 1
		.amdhsa_user_sgpr_dispatch_ptr 0
		.amdhsa_user_sgpr_queue_ptr 0
		.amdhsa_user_sgpr_kernarg_segment_ptr 1
		.amdhsa_user_sgpr_dispatch_id 0
		.amdhsa_user_sgpr_flat_scratch_init 0
		.amdhsa_user_sgpr_private_segment_size 0
		.amdhsa_uses_dynamic_stack 0
		.amdhsa_system_sgpr_private_segment_wavefront_offset 0
		.amdhsa_system_sgpr_workgroup_id_x 1
		.amdhsa_system_sgpr_workgroup_id_y 1
		.amdhsa_system_sgpr_workgroup_id_z 1
		.amdhsa_system_sgpr_workgroup_info 0
		.amdhsa_system_vgpr_workitem_id 0
		.amdhsa_next_free_vgpr 9
		.amdhsa_next_free_sgpr 20
		.amdhsa_reserve_vcc 1
		.amdhsa_reserve_flat_scratch 0
		.amdhsa_float_round_mode_32 0
		.amdhsa_float_round_mode_16_64 0
		.amdhsa_float_denorm_mode_32 3
		.amdhsa_float_denorm_mode_16_64 3
		.amdhsa_dx10_clamp 1
		.amdhsa_ieee_mode 1
		.amdhsa_fp16_overflow 0
		.amdhsa_exception_fp_ieee_invalid_op 0
		.amdhsa_exception_fp_denorm_src 0
		.amdhsa_exception_fp_ieee_div_zero 0
		.amdhsa_exception_fp_ieee_overflow 0
		.amdhsa_exception_fp_ieee_underflow 0
		.amdhsa_exception_fp_ieee_inexact 0
		.amdhsa_exception_int_div_zero 0
	.end_amdhsa_kernel
	.section	.text._ZN2at6native12_GLOBAL__N_132replication_pad_forward_kernel1dIiEEvN5torch10headeronly6detail27GenericPackedTensorAccessorINS5_14TensorAccessorIN3c108ArrayRefIlEEKT_Lm2ENS4_16DefaultPtrTraitsElEENS_6detail16IndexBoundsCheckILm3ElEESC_Lm3ESD_lEENS6_INS7_ISA_SB_Lm2ESD_lEESH_SB_Lm3ESD_lEEiii,"axG",@progbits,_ZN2at6native12_GLOBAL__N_132replication_pad_forward_kernel1dIiEEvN5torch10headeronly6detail27GenericPackedTensorAccessorINS5_14TensorAccessorIN3c108ArrayRefIlEEKT_Lm2ENS4_16DefaultPtrTraitsElEENS_6detail16IndexBoundsCheckILm3ElEESC_Lm3ESD_lEENS6_INS7_ISA_SB_Lm2ESD_lEESH_SB_Lm3ESD_lEEiii,comdat
.Lfunc_end14:
	.size	_ZN2at6native12_GLOBAL__N_132replication_pad_forward_kernel1dIiEEvN5torch10headeronly6detail27GenericPackedTensorAccessorINS5_14TensorAccessorIN3c108ArrayRefIlEEKT_Lm2ENS4_16DefaultPtrTraitsElEENS_6detail16IndexBoundsCheckILm3ElEESC_Lm3ESD_lEENS6_INS7_ISA_SB_Lm2ESD_lEESH_SB_Lm3ESD_lEEiii, .Lfunc_end14-_ZN2at6native12_GLOBAL__N_132replication_pad_forward_kernel1dIiEEvN5torch10headeronly6detail27GenericPackedTensorAccessorINS5_14TensorAccessorIN3c108ArrayRefIlEEKT_Lm2ENS4_16DefaultPtrTraitsElEENS_6detail16IndexBoundsCheckILm3ElEESC_Lm3ESD_lEENS6_INS7_ISA_SB_Lm2ESD_lEESH_SB_Lm3ESD_lEEiii
                                        ; -- End function
	.set _ZN2at6native12_GLOBAL__N_132replication_pad_forward_kernel1dIiEEvN5torch10headeronly6detail27GenericPackedTensorAccessorINS5_14TensorAccessorIN3c108ArrayRefIlEEKT_Lm2ENS4_16DefaultPtrTraitsElEENS_6detail16IndexBoundsCheckILm3ElEESC_Lm3ESD_lEENS6_INS7_ISA_SB_Lm2ESD_lEESH_SB_Lm3ESD_lEEiii.num_vgpr, 9
	.set _ZN2at6native12_GLOBAL__N_132replication_pad_forward_kernel1dIiEEvN5torch10headeronly6detail27GenericPackedTensorAccessorINS5_14TensorAccessorIN3c108ArrayRefIlEEKT_Lm2ENS4_16DefaultPtrTraitsElEENS_6detail16IndexBoundsCheckILm3ElEESC_Lm3ESD_lEENS6_INS7_ISA_SB_Lm2ESD_lEESH_SB_Lm3ESD_lEEiii.num_agpr, 0
	.set _ZN2at6native12_GLOBAL__N_132replication_pad_forward_kernel1dIiEEvN5torch10headeronly6detail27GenericPackedTensorAccessorINS5_14TensorAccessorIN3c108ArrayRefIlEEKT_Lm2ENS4_16DefaultPtrTraitsElEENS_6detail16IndexBoundsCheckILm3ElEESC_Lm3ESD_lEENS6_INS7_ISA_SB_Lm2ESD_lEESH_SB_Lm3ESD_lEEiii.numbered_sgpr, 20
	.set _ZN2at6native12_GLOBAL__N_132replication_pad_forward_kernel1dIiEEvN5torch10headeronly6detail27GenericPackedTensorAccessorINS5_14TensorAccessorIN3c108ArrayRefIlEEKT_Lm2ENS4_16DefaultPtrTraitsElEENS_6detail16IndexBoundsCheckILm3ElEESC_Lm3ESD_lEENS6_INS7_ISA_SB_Lm2ESD_lEESH_SB_Lm3ESD_lEEiii.num_named_barrier, 0
	.set _ZN2at6native12_GLOBAL__N_132replication_pad_forward_kernel1dIiEEvN5torch10headeronly6detail27GenericPackedTensorAccessorINS5_14TensorAccessorIN3c108ArrayRefIlEEKT_Lm2ENS4_16DefaultPtrTraitsElEENS_6detail16IndexBoundsCheckILm3ElEESC_Lm3ESD_lEENS6_INS7_ISA_SB_Lm2ESD_lEESH_SB_Lm3ESD_lEEiii.private_seg_size, 0
	.set _ZN2at6native12_GLOBAL__N_132replication_pad_forward_kernel1dIiEEvN5torch10headeronly6detail27GenericPackedTensorAccessorINS5_14TensorAccessorIN3c108ArrayRefIlEEKT_Lm2ENS4_16DefaultPtrTraitsElEENS_6detail16IndexBoundsCheckILm3ElEESC_Lm3ESD_lEENS6_INS7_ISA_SB_Lm2ESD_lEESH_SB_Lm3ESD_lEEiii.uses_vcc, 1
	.set _ZN2at6native12_GLOBAL__N_132replication_pad_forward_kernel1dIiEEvN5torch10headeronly6detail27GenericPackedTensorAccessorINS5_14TensorAccessorIN3c108ArrayRefIlEEKT_Lm2ENS4_16DefaultPtrTraitsElEENS_6detail16IndexBoundsCheckILm3ElEESC_Lm3ESD_lEENS6_INS7_ISA_SB_Lm2ESD_lEESH_SB_Lm3ESD_lEEiii.uses_flat_scratch, 0
	.set _ZN2at6native12_GLOBAL__N_132replication_pad_forward_kernel1dIiEEvN5torch10headeronly6detail27GenericPackedTensorAccessorINS5_14TensorAccessorIN3c108ArrayRefIlEEKT_Lm2ENS4_16DefaultPtrTraitsElEENS_6detail16IndexBoundsCheckILm3ElEESC_Lm3ESD_lEENS6_INS7_ISA_SB_Lm2ESD_lEESH_SB_Lm3ESD_lEEiii.has_dyn_sized_stack, 0
	.set _ZN2at6native12_GLOBAL__N_132replication_pad_forward_kernel1dIiEEvN5torch10headeronly6detail27GenericPackedTensorAccessorINS5_14TensorAccessorIN3c108ArrayRefIlEEKT_Lm2ENS4_16DefaultPtrTraitsElEENS_6detail16IndexBoundsCheckILm3ElEESC_Lm3ESD_lEENS6_INS7_ISA_SB_Lm2ESD_lEESH_SB_Lm3ESD_lEEiii.has_recursion, 0
	.set _ZN2at6native12_GLOBAL__N_132replication_pad_forward_kernel1dIiEEvN5torch10headeronly6detail27GenericPackedTensorAccessorINS5_14TensorAccessorIN3c108ArrayRefIlEEKT_Lm2ENS4_16DefaultPtrTraitsElEENS_6detail16IndexBoundsCheckILm3ElEESC_Lm3ESD_lEENS6_INS7_ISA_SB_Lm2ESD_lEESH_SB_Lm3ESD_lEEiii.has_indirect_call, 0
	.section	.AMDGPU.csdata,"",@progbits
; Kernel info:
; codeLenInByte = 1076
; TotalNumSgprs: 24
; NumVgprs: 9
; ScratchSize: 0
; MemoryBound: 0
; FloatMode: 240
; IeeeMode: 1
; LDSByteSize: 0 bytes/workgroup (compile time only)
; SGPRBlocks: 2
; VGPRBlocks: 2
; NumSGPRsForWavesPerEU: 24
; NumVGPRsForWavesPerEU: 9
; Occupancy: 10
; WaveLimiterHint : 1
; COMPUTE_PGM_RSRC2:SCRATCH_EN: 0
; COMPUTE_PGM_RSRC2:USER_SGPR: 6
; COMPUTE_PGM_RSRC2:TRAP_HANDLER: 0
; COMPUTE_PGM_RSRC2:TGID_X_EN: 1
; COMPUTE_PGM_RSRC2:TGID_Y_EN: 1
; COMPUTE_PGM_RSRC2:TGID_Z_EN: 1
; COMPUTE_PGM_RSRC2:TIDIG_COMP_CNT: 0
	.section	.text._ZN2at6native12_GLOBAL__N_132replication_pad_forward_kernel1dIlEEvN5torch10headeronly6detail27GenericPackedTensorAccessorINS5_14TensorAccessorIN3c108ArrayRefIlEEKT_Lm2ENS4_16DefaultPtrTraitsElEENS_6detail16IndexBoundsCheckILm3ElEESC_Lm3ESD_lEENS6_INS7_ISA_SB_Lm2ESD_lEESH_SB_Lm3ESD_lEEiii,"axG",@progbits,_ZN2at6native12_GLOBAL__N_132replication_pad_forward_kernel1dIlEEvN5torch10headeronly6detail27GenericPackedTensorAccessorINS5_14TensorAccessorIN3c108ArrayRefIlEEKT_Lm2ENS4_16DefaultPtrTraitsElEENS_6detail16IndexBoundsCheckILm3ElEESC_Lm3ESD_lEENS6_INS7_ISA_SB_Lm2ESD_lEESH_SB_Lm3ESD_lEEiii,comdat
	.globl	_ZN2at6native12_GLOBAL__N_132replication_pad_forward_kernel1dIlEEvN5torch10headeronly6detail27GenericPackedTensorAccessorINS5_14TensorAccessorIN3c108ArrayRefIlEEKT_Lm2ENS4_16DefaultPtrTraitsElEENS_6detail16IndexBoundsCheckILm3ElEESC_Lm3ESD_lEENS6_INS7_ISA_SB_Lm2ESD_lEESH_SB_Lm3ESD_lEEiii ; -- Begin function _ZN2at6native12_GLOBAL__N_132replication_pad_forward_kernel1dIlEEvN5torch10headeronly6detail27GenericPackedTensorAccessorINS5_14TensorAccessorIN3c108ArrayRefIlEEKT_Lm2ENS4_16DefaultPtrTraitsElEENS_6detail16IndexBoundsCheckILm3ElEESC_Lm3ESD_lEENS6_INS7_ISA_SB_Lm2ESD_lEESH_SB_Lm3ESD_lEEiii
	.p2align	8
	.type	_ZN2at6native12_GLOBAL__N_132replication_pad_forward_kernel1dIlEEvN5torch10headeronly6detail27GenericPackedTensorAccessorINS5_14TensorAccessorIN3c108ArrayRefIlEEKT_Lm2ENS4_16DefaultPtrTraitsElEENS_6detail16IndexBoundsCheckILm3ElEESC_Lm3ESD_lEENS6_INS7_ISA_SB_Lm2ESD_lEESH_SB_Lm3ESD_lEEiii,@function
_ZN2at6native12_GLOBAL__N_132replication_pad_forward_kernel1dIlEEvN5torch10headeronly6detail27GenericPackedTensorAccessorINS5_14TensorAccessorIN3c108ArrayRefIlEEKT_Lm2ENS4_16DefaultPtrTraitsElEENS_6detail16IndexBoundsCheckILm3ElEESC_Lm3ESD_lEENS6_INS7_ISA_SB_Lm2ESD_lEESH_SB_Lm3ESD_lEEiii: ; @_ZN2at6native12_GLOBAL__N_132replication_pad_forward_kernel1dIlEEvN5torch10headeronly6detail27GenericPackedTensorAccessorINS5_14TensorAccessorIN3c108ArrayRefIlEEKT_Lm2ENS4_16DefaultPtrTraitsElEENS_6detail16IndexBoundsCheckILm3ElEESC_Lm3ESD_lEENS6_INS7_ISA_SB_Lm2ESD_lEESH_SB_Lm3ESD_lEEiii
; %bb.0:
	s_load_dword s0, s[4:5], 0x8c
	s_load_dwordx2 s[10:11], s[4:5], 0x50
	v_mov_b32_e32 v2, 0
	v_mov_b32_e32 v1, v2
	;; [unrolled: 1-line block ×3, first 2 shown]
	s_waitcnt lgkmcnt(0)
	s_and_b32 s0, s0, 0xffff
	v_mad_u64_u32 v[0:1], s[0:1], s0, v3, v[0:1]
	v_cmp_gt_i64_e32 vcc, s[10:11], v[0:1]
	s_and_saveexec_b64 s[0:1], vcc
	s_cbranch_execz .LBB15_6
; %bb.1:
	v_or_b32_e32 v3, s11, v1
	v_cmp_ne_u64_e32 vcc, 0, v[2:3]
                                        ; implicit-def: $vgpr2_vgpr3
	s_and_saveexec_b64 s[0:1], vcc
	s_xor_b64 s[12:13], exec, s[0:1]
	s_cbranch_execz .LBB15_3
; %bb.2:
	v_cvt_f32_u32_e32 v2, s10
	v_cvt_f32_u32_e32 v3, s11
	s_sub_u32 s2, 0, s10
	s_subb_u32 s3, 0, s11
	v_madmk_f32 v2, v3, 0x4f800000, v2
	v_rcp_f32_e32 v2, v2
	v_mul_f32_e32 v2, 0x5f7ffffc, v2
	v_mul_f32_e32 v3, 0x2f800000, v2
	v_trunc_f32_e32 v3, v3
	v_madmk_f32 v2, v3, 0xcf800000, v2
	v_cvt_u32_f32_e32 v3, v3
	v_cvt_u32_f32_e32 v2, v2
	v_readfirstlane_b32 s6, v3
	v_readfirstlane_b32 s0, v2
	s_mul_i32 s1, s2, s6
	s_mul_hi_u32 s14, s2, s0
	s_mul_i32 s9, s3, s0
	s_add_i32 s1, s14, s1
	s_mul_i32 s15, s2, s0
	s_add_i32 s1, s1, s9
	s_mul_i32 s14, s0, s1
	s_mul_hi_u32 s16, s0, s15
	s_mul_hi_u32 s9, s0, s1
	s_add_u32 s14, s16, s14
	s_addc_u32 s9, 0, s9
	s_mul_hi_u32 s17, s6, s15
	s_mul_i32 s15, s6, s15
	s_add_u32 s14, s14, s15
	s_mul_hi_u32 s16, s6, s1
	s_addc_u32 s9, s9, s17
	s_addc_u32 s14, s16, 0
	s_mul_i32 s1, s6, s1
	s_add_u32 s1, s9, s1
	s_addc_u32 s9, 0, s14
	s_add_u32 s14, s0, s1
	s_cselect_b64 s[0:1], -1, 0
	s_cmp_lg_u64 s[0:1], 0
	s_addc_u32 s6, s6, s9
	s_mul_i32 s0, s2, s6
	s_mul_hi_u32 s1, s2, s14
	s_add_i32 s0, s1, s0
	s_mul_i32 s3, s3, s14
	s_add_i32 s0, s0, s3
	s_mul_i32 s2, s2, s14
	s_mul_hi_u32 s3, s6, s2
	s_mul_i32 s9, s6, s2
	s_mul_i32 s16, s14, s0
	s_mul_hi_u32 s2, s14, s2
	s_mul_hi_u32 s15, s14, s0
	s_add_u32 s2, s2, s16
	s_addc_u32 s15, 0, s15
	s_add_u32 s2, s2, s9
	s_mul_hi_u32 s1, s6, s0
	s_addc_u32 s2, s15, s3
	s_addc_u32 s1, s1, 0
	s_mul_i32 s0, s6, s0
	s_add_u32 s0, s2, s0
	s_addc_u32 s2, 0, s1
	s_add_u32 s3, s14, s0
	s_cselect_b64 s[0:1], -1, 0
	s_cmp_lg_u64 s[0:1], 0
	s_addc_u32 s2, s6, s2
	v_mad_u64_u32 v[2:3], s[0:1], v0, s2, 0
	v_mul_hi_u32 v4, v0, s3
	v_add_co_u32_e32 v6, vcc, v4, v2
	v_addc_co_u32_e32 v7, vcc, 0, v3, vcc
	v_mad_u64_u32 v[2:3], s[0:1], v1, s3, 0
	v_mad_u64_u32 v[4:5], s[0:1], v1, s2, 0
	v_add_co_u32_e32 v2, vcc, v6, v2
	v_addc_co_u32_e32 v2, vcc, v7, v3, vcc
	v_addc_co_u32_e32 v3, vcc, 0, v5, vcc
	v_add_co_u32_e32 v2, vcc, v2, v4
	v_addc_co_u32_e32 v3, vcc, 0, v3, vcc
	v_mul_lo_u32 v4, s11, v2
	v_mul_lo_u32 v5, s10, v3
	v_mad_u64_u32 v[2:3], s[0:1], s10, v2, 0
	v_add3_u32 v3, v3, v5, v4
	v_sub_u32_e32 v4, v1, v3
	v_mov_b32_e32 v5, s11
	v_sub_co_u32_e32 v0, vcc, v0, v2
	v_subb_co_u32_e64 v2, s[0:1], v4, v5, vcc
	v_subrev_co_u32_e64 v4, s[0:1], s10, v0
	v_subbrev_co_u32_e64 v6, s[2:3], 0, v2, s[0:1]
	v_cmp_le_u32_e64 s[2:3], s11, v6
	v_cndmask_b32_e64 v7, 0, -1, s[2:3]
	v_cmp_le_u32_e64 s[2:3], s10, v4
	v_subb_co_u32_e64 v2, s[0:1], v2, v5, s[0:1]
	v_cndmask_b32_e64 v8, 0, -1, s[2:3]
	v_cmp_eq_u32_e64 s[2:3], s11, v6
	v_subrev_co_u32_e64 v5, s[0:1], s10, v4
	v_subb_co_u32_e32 v1, vcc, v1, v3, vcc
	v_cndmask_b32_e64 v7, v7, v8, s[2:3]
	v_subbrev_co_u32_e64 v2, s[0:1], 0, v2, s[0:1]
	v_cmp_le_u32_e32 vcc, s11, v1
	v_cmp_ne_u32_e64 s[0:1], 0, v7
	v_cndmask_b32_e64 v3, 0, -1, vcc
	v_cmp_le_u32_e32 vcc, s10, v0
	v_cndmask_b32_e64 v2, v6, v2, s[0:1]
	v_cndmask_b32_e64 v6, 0, -1, vcc
	v_cmp_eq_u32_e32 vcc, s11, v1
	v_cndmask_b32_e32 v3, v3, v6, vcc
	v_cmp_ne_u32_e32 vcc, 0, v3
	v_cndmask_b32_e32 v3, v1, v2, vcc
	v_cndmask_b32_e64 v1, v4, v5, s[0:1]
	v_cndmask_b32_e32 v2, v0, v1, vcc
                                        ; implicit-def: $vgpr0_vgpr1
.LBB15_3:
	s_andn2_saveexec_b64 s[0:1], s[12:13]
	s_cbranch_execz .LBB15_5
; %bb.4:
	v_cvt_f32_u32_e32 v1, s10
	s_sub_i32 s2, 0, s10
	v_mov_b32_e32 v3, 0
	v_rcp_iflag_f32_e32 v1, v1
	v_mul_f32_e32 v1, 0x4f7ffffe, v1
	v_cvt_u32_f32_e32 v1, v1
	v_mul_lo_u32 v2, s2, v1
	v_mul_hi_u32 v2, v1, v2
	v_add_u32_e32 v1, v1, v2
	v_mul_hi_u32 v1, v0, v1
	v_mul_lo_u32 v1, v1, s10
	v_sub_u32_e32 v0, v0, v1
	v_subrev_u32_e32 v1, s10, v0
	v_cmp_le_u32_e32 vcc, s10, v0
	v_cndmask_b32_e32 v0, v0, v1, vcc
	v_subrev_u32_e32 v1, s10, v0
	v_cmp_le_u32_e32 vcc, s10, v0
	v_cndmask_b32_e32 v2, v0, v1, vcc
.LBB15_5:
	s_or_b64 exec, exec, s[0:1]
	s_load_dwordx4 s[0:3], s[4:5], 0x70
	s_load_dwordx8 s[12:19], s[4:5], 0x18
	s_load_dwordx2 s[10:11], s[4:5], 0x68
	s_waitcnt lgkmcnt(0)
	s_add_i32 s9, s1, s7
	s_sub_i32 s1, 0, s0
	s_max_i32 s6, s0, 0
	v_max_i32_e32 v0, s0, v2
	s_add_i32 s0, s0, s12
	s_add_i32 s8, s2, s8
	s_max_i32 s1, s1, 0
	s_load_dwordx2 s[2:3], s[4:5], 0x0
	s_add_i32 s0, s0, -1
	v_min_i32_e32 v0, s0, v0
	s_sub_i32 s0, s1, s6
	v_add_u32_e32 v0, s0, v0
	s_mul_i32 s0, s15, s8
	s_mul_hi_u32 s1, s14, s8
	s_add_i32 s1, s1, s0
	s_mul_i32 s0, s14, s8
	s_lshl_b64 s[0:1], s[0:1], 3
	s_waitcnt lgkmcnt(0)
	s_add_u32 s6, s2, s0
	v_ashrrev_i32_e32 v1, 31, v0
	s_addc_u32 s7, s3, s1
	v_mul_lo_u32 v4, s18, v1
	v_mul_lo_u32 v5, s19, v0
	v_mad_u64_u32 v[0:1], s[2:3], s18, v0, 0
	s_mul_i32 s0, s17, s9
	s_mul_hi_u32 s1, s16, s9
	s_add_i32 s1, s1, s0
	s_mul_i32 s0, s16, s9
	s_lshl_b64 s[0:1], s[0:1], 3
	v_add3_u32 v1, v1, v4, v5
	s_add_u32 s0, s6, s0
	v_lshlrev_b64 v[0:1], 3, v[0:1]
	s_addc_u32 s1, s7, s1
	v_mov_b32_e32 v4, s1
	v_add_co_u32_e32 v0, vcc, s0, v0
	v_addc_co_u32_e32 v1, vcc, v4, v1, vcc
	global_load_dwordx2 v[0:1], v[0:1], off
	s_load_dwordx4 s[0:3], s[4:5], 0x58
	s_load_dwordx2 s[6:7], s[4:5], 0x38
	v_mul_lo_u32 v4, s11, v2
	v_mul_lo_u32 v5, s10, v3
	s_waitcnt lgkmcnt(0)
	s_mul_i32 s1, s1, s8
	s_mul_hi_u32 s4, s0, s8
	s_add_i32 s1, s4, s1
	s_mul_i32 s0, s0, s8
	s_lshl_b64 s[0:1], s[0:1], 3
	s_add_u32 s4, s6, s0
	s_addc_u32 s5, s7, s1
	s_mul_i32 s0, s3, s9
	s_mul_hi_u32 s1, s2, s9
	s_add_i32 s1, s1, s0
	s_mul_i32 s0, s2, s9
	v_mad_u64_u32 v[2:3], s[2:3], s10, v2, 0
	s_lshl_b64 s[0:1], s[0:1], 3
	s_add_u32 s0, s4, s0
	v_add3_u32 v3, v3, v5, v4
	v_lshlrev_b64 v[2:3], 3, v[2:3]
	s_addc_u32 s1, s5, s1
	v_mov_b32_e32 v4, s1
	v_add_co_u32_e32 v2, vcc, s0, v2
	v_addc_co_u32_e32 v3, vcc, v4, v3, vcc
	s_waitcnt vmcnt(0)
	global_store_dwordx2 v[2:3], v[0:1], off
.LBB15_6:
	s_endpgm
	.section	.rodata,"a",@progbits
	.p2align	6, 0x0
	.amdhsa_kernel _ZN2at6native12_GLOBAL__N_132replication_pad_forward_kernel1dIlEEvN5torch10headeronly6detail27GenericPackedTensorAccessorINS5_14TensorAccessorIN3c108ArrayRefIlEEKT_Lm2ENS4_16DefaultPtrTraitsElEENS_6detail16IndexBoundsCheckILm3ElEESC_Lm3ESD_lEENS6_INS7_ISA_SB_Lm2ESD_lEESH_SB_Lm3ESD_lEEiii
		.amdhsa_group_segment_fixed_size 0
		.amdhsa_private_segment_fixed_size 0
		.amdhsa_kernarg_size 384
		.amdhsa_user_sgpr_count 6
		.amdhsa_user_sgpr_private_segment_buffer 1
		.amdhsa_user_sgpr_dispatch_ptr 0
		.amdhsa_user_sgpr_queue_ptr 0
		.amdhsa_user_sgpr_kernarg_segment_ptr 1
		.amdhsa_user_sgpr_dispatch_id 0
		.amdhsa_user_sgpr_flat_scratch_init 0
		.amdhsa_user_sgpr_private_segment_size 0
		.amdhsa_uses_dynamic_stack 0
		.amdhsa_system_sgpr_private_segment_wavefront_offset 0
		.amdhsa_system_sgpr_workgroup_id_x 1
		.amdhsa_system_sgpr_workgroup_id_y 1
		.amdhsa_system_sgpr_workgroup_id_z 1
		.amdhsa_system_sgpr_workgroup_info 0
		.amdhsa_system_vgpr_workitem_id 0
		.amdhsa_next_free_vgpr 9
		.amdhsa_next_free_sgpr 20
		.amdhsa_reserve_vcc 1
		.amdhsa_reserve_flat_scratch 0
		.amdhsa_float_round_mode_32 0
		.amdhsa_float_round_mode_16_64 0
		.amdhsa_float_denorm_mode_32 3
		.amdhsa_float_denorm_mode_16_64 3
		.amdhsa_dx10_clamp 1
		.amdhsa_ieee_mode 1
		.amdhsa_fp16_overflow 0
		.amdhsa_exception_fp_ieee_invalid_op 0
		.amdhsa_exception_fp_denorm_src 0
		.amdhsa_exception_fp_ieee_div_zero 0
		.amdhsa_exception_fp_ieee_overflow 0
		.amdhsa_exception_fp_ieee_underflow 0
		.amdhsa_exception_fp_ieee_inexact 0
		.amdhsa_exception_int_div_zero 0
	.end_amdhsa_kernel
	.section	.text._ZN2at6native12_GLOBAL__N_132replication_pad_forward_kernel1dIlEEvN5torch10headeronly6detail27GenericPackedTensorAccessorINS5_14TensorAccessorIN3c108ArrayRefIlEEKT_Lm2ENS4_16DefaultPtrTraitsElEENS_6detail16IndexBoundsCheckILm3ElEESC_Lm3ESD_lEENS6_INS7_ISA_SB_Lm2ESD_lEESH_SB_Lm3ESD_lEEiii,"axG",@progbits,_ZN2at6native12_GLOBAL__N_132replication_pad_forward_kernel1dIlEEvN5torch10headeronly6detail27GenericPackedTensorAccessorINS5_14TensorAccessorIN3c108ArrayRefIlEEKT_Lm2ENS4_16DefaultPtrTraitsElEENS_6detail16IndexBoundsCheckILm3ElEESC_Lm3ESD_lEENS6_INS7_ISA_SB_Lm2ESD_lEESH_SB_Lm3ESD_lEEiii,comdat
.Lfunc_end15:
	.size	_ZN2at6native12_GLOBAL__N_132replication_pad_forward_kernel1dIlEEvN5torch10headeronly6detail27GenericPackedTensorAccessorINS5_14TensorAccessorIN3c108ArrayRefIlEEKT_Lm2ENS4_16DefaultPtrTraitsElEENS_6detail16IndexBoundsCheckILm3ElEESC_Lm3ESD_lEENS6_INS7_ISA_SB_Lm2ESD_lEESH_SB_Lm3ESD_lEEiii, .Lfunc_end15-_ZN2at6native12_GLOBAL__N_132replication_pad_forward_kernel1dIlEEvN5torch10headeronly6detail27GenericPackedTensorAccessorINS5_14TensorAccessorIN3c108ArrayRefIlEEKT_Lm2ENS4_16DefaultPtrTraitsElEENS_6detail16IndexBoundsCheckILm3ElEESC_Lm3ESD_lEENS6_INS7_ISA_SB_Lm2ESD_lEESH_SB_Lm3ESD_lEEiii
                                        ; -- End function
	.set _ZN2at6native12_GLOBAL__N_132replication_pad_forward_kernel1dIlEEvN5torch10headeronly6detail27GenericPackedTensorAccessorINS5_14TensorAccessorIN3c108ArrayRefIlEEKT_Lm2ENS4_16DefaultPtrTraitsElEENS_6detail16IndexBoundsCheckILm3ElEESC_Lm3ESD_lEENS6_INS7_ISA_SB_Lm2ESD_lEESH_SB_Lm3ESD_lEEiii.num_vgpr, 9
	.set _ZN2at6native12_GLOBAL__N_132replication_pad_forward_kernel1dIlEEvN5torch10headeronly6detail27GenericPackedTensorAccessorINS5_14TensorAccessorIN3c108ArrayRefIlEEKT_Lm2ENS4_16DefaultPtrTraitsElEENS_6detail16IndexBoundsCheckILm3ElEESC_Lm3ESD_lEENS6_INS7_ISA_SB_Lm2ESD_lEESH_SB_Lm3ESD_lEEiii.num_agpr, 0
	.set _ZN2at6native12_GLOBAL__N_132replication_pad_forward_kernel1dIlEEvN5torch10headeronly6detail27GenericPackedTensorAccessorINS5_14TensorAccessorIN3c108ArrayRefIlEEKT_Lm2ENS4_16DefaultPtrTraitsElEENS_6detail16IndexBoundsCheckILm3ElEESC_Lm3ESD_lEENS6_INS7_ISA_SB_Lm2ESD_lEESH_SB_Lm3ESD_lEEiii.numbered_sgpr, 20
	.set _ZN2at6native12_GLOBAL__N_132replication_pad_forward_kernel1dIlEEvN5torch10headeronly6detail27GenericPackedTensorAccessorINS5_14TensorAccessorIN3c108ArrayRefIlEEKT_Lm2ENS4_16DefaultPtrTraitsElEENS_6detail16IndexBoundsCheckILm3ElEESC_Lm3ESD_lEENS6_INS7_ISA_SB_Lm2ESD_lEESH_SB_Lm3ESD_lEEiii.num_named_barrier, 0
	.set _ZN2at6native12_GLOBAL__N_132replication_pad_forward_kernel1dIlEEvN5torch10headeronly6detail27GenericPackedTensorAccessorINS5_14TensorAccessorIN3c108ArrayRefIlEEKT_Lm2ENS4_16DefaultPtrTraitsElEENS_6detail16IndexBoundsCheckILm3ElEESC_Lm3ESD_lEENS6_INS7_ISA_SB_Lm2ESD_lEESH_SB_Lm3ESD_lEEiii.private_seg_size, 0
	.set _ZN2at6native12_GLOBAL__N_132replication_pad_forward_kernel1dIlEEvN5torch10headeronly6detail27GenericPackedTensorAccessorINS5_14TensorAccessorIN3c108ArrayRefIlEEKT_Lm2ENS4_16DefaultPtrTraitsElEENS_6detail16IndexBoundsCheckILm3ElEESC_Lm3ESD_lEENS6_INS7_ISA_SB_Lm2ESD_lEESH_SB_Lm3ESD_lEEiii.uses_vcc, 1
	.set _ZN2at6native12_GLOBAL__N_132replication_pad_forward_kernel1dIlEEvN5torch10headeronly6detail27GenericPackedTensorAccessorINS5_14TensorAccessorIN3c108ArrayRefIlEEKT_Lm2ENS4_16DefaultPtrTraitsElEENS_6detail16IndexBoundsCheckILm3ElEESC_Lm3ESD_lEENS6_INS7_ISA_SB_Lm2ESD_lEESH_SB_Lm3ESD_lEEiii.uses_flat_scratch, 0
	.set _ZN2at6native12_GLOBAL__N_132replication_pad_forward_kernel1dIlEEvN5torch10headeronly6detail27GenericPackedTensorAccessorINS5_14TensorAccessorIN3c108ArrayRefIlEEKT_Lm2ENS4_16DefaultPtrTraitsElEENS_6detail16IndexBoundsCheckILm3ElEESC_Lm3ESD_lEENS6_INS7_ISA_SB_Lm2ESD_lEESH_SB_Lm3ESD_lEEiii.has_dyn_sized_stack, 0
	.set _ZN2at6native12_GLOBAL__N_132replication_pad_forward_kernel1dIlEEvN5torch10headeronly6detail27GenericPackedTensorAccessorINS5_14TensorAccessorIN3c108ArrayRefIlEEKT_Lm2ENS4_16DefaultPtrTraitsElEENS_6detail16IndexBoundsCheckILm3ElEESC_Lm3ESD_lEENS6_INS7_ISA_SB_Lm2ESD_lEESH_SB_Lm3ESD_lEEiii.has_recursion, 0
	.set _ZN2at6native12_GLOBAL__N_132replication_pad_forward_kernel1dIlEEvN5torch10headeronly6detail27GenericPackedTensorAccessorINS5_14TensorAccessorIN3c108ArrayRefIlEEKT_Lm2ENS4_16DefaultPtrTraitsElEENS_6detail16IndexBoundsCheckILm3ElEESC_Lm3ESD_lEENS6_INS7_ISA_SB_Lm2ESD_lEESH_SB_Lm3ESD_lEEiii.has_indirect_call, 0
	.section	.AMDGPU.csdata,"",@progbits
; Kernel info:
; codeLenInByte = 1076
; TotalNumSgprs: 24
; NumVgprs: 9
; ScratchSize: 0
; MemoryBound: 0
; FloatMode: 240
; IeeeMode: 1
; LDSByteSize: 0 bytes/workgroup (compile time only)
; SGPRBlocks: 2
; VGPRBlocks: 2
; NumSGPRsForWavesPerEU: 24
; NumVGPRsForWavesPerEU: 9
; Occupancy: 10
; WaveLimiterHint : 1
; COMPUTE_PGM_RSRC2:SCRATCH_EN: 0
; COMPUTE_PGM_RSRC2:USER_SGPR: 6
; COMPUTE_PGM_RSRC2:TRAP_HANDLER: 0
; COMPUTE_PGM_RSRC2:TGID_X_EN: 1
; COMPUTE_PGM_RSRC2:TGID_Y_EN: 1
; COMPUTE_PGM_RSRC2:TGID_Z_EN: 1
; COMPUTE_PGM_RSRC2:TIDIG_COMP_CNT: 0
	.section	.text._ZN2at6native12_GLOBAL__N_132replication_pad_forward_kernel1dIsEEvN5torch10headeronly6detail27GenericPackedTensorAccessorINS5_14TensorAccessorIN3c108ArrayRefIlEEKT_Lm2ENS4_16DefaultPtrTraitsElEENS_6detail16IndexBoundsCheckILm3ElEESC_Lm3ESD_lEENS6_INS7_ISA_SB_Lm2ESD_lEESH_SB_Lm3ESD_lEEiii,"axG",@progbits,_ZN2at6native12_GLOBAL__N_132replication_pad_forward_kernel1dIsEEvN5torch10headeronly6detail27GenericPackedTensorAccessorINS5_14TensorAccessorIN3c108ArrayRefIlEEKT_Lm2ENS4_16DefaultPtrTraitsElEENS_6detail16IndexBoundsCheckILm3ElEESC_Lm3ESD_lEENS6_INS7_ISA_SB_Lm2ESD_lEESH_SB_Lm3ESD_lEEiii,comdat
	.globl	_ZN2at6native12_GLOBAL__N_132replication_pad_forward_kernel1dIsEEvN5torch10headeronly6detail27GenericPackedTensorAccessorINS5_14TensorAccessorIN3c108ArrayRefIlEEKT_Lm2ENS4_16DefaultPtrTraitsElEENS_6detail16IndexBoundsCheckILm3ElEESC_Lm3ESD_lEENS6_INS7_ISA_SB_Lm2ESD_lEESH_SB_Lm3ESD_lEEiii ; -- Begin function _ZN2at6native12_GLOBAL__N_132replication_pad_forward_kernel1dIsEEvN5torch10headeronly6detail27GenericPackedTensorAccessorINS5_14TensorAccessorIN3c108ArrayRefIlEEKT_Lm2ENS4_16DefaultPtrTraitsElEENS_6detail16IndexBoundsCheckILm3ElEESC_Lm3ESD_lEENS6_INS7_ISA_SB_Lm2ESD_lEESH_SB_Lm3ESD_lEEiii
	.p2align	8
	.type	_ZN2at6native12_GLOBAL__N_132replication_pad_forward_kernel1dIsEEvN5torch10headeronly6detail27GenericPackedTensorAccessorINS5_14TensorAccessorIN3c108ArrayRefIlEEKT_Lm2ENS4_16DefaultPtrTraitsElEENS_6detail16IndexBoundsCheckILm3ElEESC_Lm3ESD_lEENS6_INS7_ISA_SB_Lm2ESD_lEESH_SB_Lm3ESD_lEEiii,@function
_ZN2at6native12_GLOBAL__N_132replication_pad_forward_kernel1dIsEEvN5torch10headeronly6detail27GenericPackedTensorAccessorINS5_14TensorAccessorIN3c108ArrayRefIlEEKT_Lm2ENS4_16DefaultPtrTraitsElEENS_6detail16IndexBoundsCheckILm3ElEESC_Lm3ESD_lEENS6_INS7_ISA_SB_Lm2ESD_lEESH_SB_Lm3ESD_lEEiii: ; @_ZN2at6native12_GLOBAL__N_132replication_pad_forward_kernel1dIsEEvN5torch10headeronly6detail27GenericPackedTensorAccessorINS5_14TensorAccessorIN3c108ArrayRefIlEEKT_Lm2ENS4_16DefaultPtrTraitsElEENS_6detail16IndexBoundsCheckILm3ElEESC_Lm3ESD_lEENS6_INS7_ISA_SB_Lm2ESD_lEESH_SB_Lm3ESD_lEEiii
; %bb.0:
	s_load_dword s0, s[4:5], 0x8c
	s_load_dwordx2 s[10:11], s[4:5], 0x50
	v_mov_b32_e32 v2, 0
	v_mov_b32_e32 v1, v2
	v_mov_b32_e32 v3, s6
	s_waitcnt lgkmcnt(0)
	s_and_b32 s0, s0, 0xffff
	v_mad_u64_u32 v[0:1], s[0:1], s0, v3, v[0:1]
	v_cmp_gt_i64_e32 vcc, s[10:11], v[0:1]
	s_and_saveexec_b64 s[0:1], vcc
	s_cbranch_execz .LBB16_6
; %bb.1:
	v_or_b32_e32 v3, s11, v1
	v_cmp_ne_u64_e32 vcc, 0, v[2:3]
                                        ; implicit-def: $vgpr2_vgpr3
	s_and_saveexec_b64 s[0:1], vcc
	s_xor_b64 s[12:13], exec, s[0:1]
	s_cbranch_execz .LBB16_3
; %bb.2:
	v_cvt_f32_u32_e32 v2, s10
	v_cvt_f32_u32_e32 v3, s11
	s_sub_u32 s2, 0, s10
	s_subb_u32 s3, 0, s11
	v_madmk_f32 v2, v3, 0x4f800000, v2
	v_rcp_f32_e32 v2, v2
	v_mul_f32_e32 v2, 0x5f7ffffc, v2
	v_mul_f32_e32 v3, 0x2f800000, v2
	v_trunc_f32_e32 v3, v3
	v_madmk_f32 v2, v3, 0xcf800000, v2
	v_cvt_u32_f32_e32 v3, v3
	v_cvt_u32_f32_e32 v2, v2
	v_readfirstlane_b32 s6, v3
	v_readfirstlane_b32 s0, v2
	s_mul_i32 s1, s2, s6
	s_mul_hi_u32 s14, s2, s0
	s_mul_i32 s9, s3, s0
	s_add_i32 s1, s14, s1
	s_mul_i32 s15, s2, s0
	s_add_i32 s1, s1, s9
	s_mul_i32 s14, s0, s1
	s_mul_hi_u32 s16, s0, s15
	s_mul_hi_u32 s9, s0, s1
	s_add_u32 s14, s16, s14
	s_addc_u32 s9, 0, s9
	s_mul_hi_u32 s17, s6, s15
	s_mul_i32 s15, s6, s15
	s_add_u32 s14, s14, s15
	s_mul_hi_u32 s16, s6, s1
	s_addc_u32 s9, s9, s17
	s_addc_u32 s14, s16, 0
	s_mul_i32 s1, s6, s1
	s_add_u32 s1, s9, s1
	s_addc_u32 s9, 0, s14
	s_add_u32 s14, s0, s1
	s_cselect_b64 s[0:1], -1, 0
	s_cmp_lg_u64 s[0:1], 0
	s_addc_u32 s6, s6, s9
	s_mul_i32 s0, s2, s6
	s_mul_hi_u32 s1, s2, s14
	s_add_i32 s0, s1, s0
	s_mul_i32 s3, s3, s14
	s_add_i32 s0, s0, s3
	s_mul_i32 s2, s2, s14
	s_mul_hi_u32 s3, s6, s2
	s_mul_i32 s9, s6, s2
	s_mul_i32 s16, s14, s0
	s_mul_hi_u32 s2, s14, s2
	s_mul_hi_u32 s15, s14, s0
	s_add_u32 s2, s2, s16
	s_addc_u32 s15, 0, s15
	s_add_u32 s2, s2, s9
	s_mul_hi_u32 s1, s6, s0
	s_addc_u32 s2, s15, s3
	s_addc_u32 s1, s1, 0
	s_mul_i32 s0, s6, s0
	s_add_u32 s0, s2, s0
	s_addc_u32 s2, 0, s1
	s_add_u32 s3, s14, s0
	s_cselect_b64 s[0:1], -1, 0
	s_cmp_lg_u64 s[0:1], 0
	s_addc_u32 s2, s6, s2
	v_mad_u64_u32 v[2:3], s[0:1], v0, s2, 0
	v_mul_hi_u32 v4, v0, s3
	v_add_co_u32_e32 v6, vcc, v4, v2
	v_addc_co_u32_e32 v7, vcc, 0, v3, vcc
	v_mad_u64_u32 v[2:3], s[0:1], v1, s3, 0
	v_mad_u64_u32 v[4:5], s[0:1], v1, s2, 0
	v_add_co_u32_e32 v2, vcc, v6, v2
	v_addc_co_u32_e32 v2, vcc, v7, v3, vcc
	v_addc_co_u32_e32 v3, vcc, 0, v5, vcc
	v_add_co_u32_e32 v2, vcc, v2, v4
	v_addc_co_u32_e32 v3, vcc, 0, v3, vcc
	v_mul_lo_u32 v4, s11, v2
	v_mul_lo_u32 v5, s10, v3
	v_mad_u64_u32 v[2:3], s[0:1], s10, v2, 0
	v_add3_u32 v3, v3, v5, v4
	v_sub_u32_e32 v4, v1, v3
	v_mov_b32_e32 v5, s11
	v_sub_co_u32_e32 v0, vcc, v0, v2
	v_subb_co_u32_e64 v2, s[0:1], v4, v5, vcc
	v_subrev_co_u32_e64 v4, s[0:1], s10, v0
	v_subbrev_co_u32_e64 v6, s[2:3], 0, v2, s[0:1]
	v_cmp_le_u32_e64 s[2:3], s11, v6
	v_cndmask_b32_e64 v7, 0, -1, s[2:3]
	v_cmp_le_u32_e64 s[2:3], s10, v4
	v_subb_co_u32_e64 v2, s[0:1], v2, v5, s[0:1]
	v_cndmask_b32_e64 v8, 0, -1, s[2:3]
	v_cmp_eq_u32_e64 s[2:3], s11, v6
	v_subrev_co_u32_e64 v5, s[0:1], s10, v4
	v_subb_co_u32_e32 v1, vcc, v1, v3, vcc
	v_cndmask_b32_e64 v7, v7, v8, s[2:3]
	v_subbrev_co_u32_e64 v2, s[0:1], 0, v2, s[0:1]
	v_cmp_le_u32_e32 vcc, s11, v1
	v_cmp_ne_u32_e64 s[0:1], 0, v7
	v_cndmask_b32_e64 v3, 0, -1, vcc
	v_cmp_le_u32_e32 vcc, s10, v0
	v_cndmask_b32_e64 v2, v6, v2, s[0:1]
	v_cndmask_b32_e64 v6, 0, -1, vcc
	v_cmp_eq_u32_e32 vcc, s11, v1
	v_cndmask_b32_e32 v3, v3, v6, vcc
	v_cmp_ne_u32_e32 vcc, 0, v3
	v_cndmask_b32_e32 v3, v1, v2, vcc
	v_cndmask_b32_e64 v1, v4, v5, s[0:1]
	v_cndmask_b32_e32 v2, v0, v1, vcc
                                        ; implicit-def: $vgpr0_vgpr1
.LBB16_3:
	s_andn2_saveexec_b64 s[0:1], s[12:13]
	s_cbranch_execz .LBB16_5
; %bb.4:
	v_cvt_f32_u32_e32 v1, s10
	s_sub_i32 s2, 0, s10
	v_mov_b32_e32 v3, 0
	v_rcp_iflag_f32_e32 v1, v1
	v_mul_f32_e32 v1, 0x4f7ffffe, v1
	v_cvt_u32_f32_e32 v1, v1
	v_mul_lo_u32 v2, s2, v1
	v_mul_hi_u32 v2, v1, v2
	v_add_u32_e32 v1, v1, v2
	v_mul_hi_u32 v1, v0, v1
	v_mul_lo_u32 v1, v1, s10
	v_sub_u32_e32 v0, v0, v1
	v_subrev_u32_e32 v1, s10, v0
	v_cmp_le_u32_e32 vcc, s10, v0
	v_cndmask_b32_e32 v0, v0, v1, vcc
	v_subrev_u32_e32 v1, s10, v0
	v_cmp_le_u32_e32 vcc, s10, v0
	v_cndmask_b32_e32 v2, v0, v1, vcc
.LBB16_5:
	s_or_b64 exec, exec, s[0:1]
	s_load_dwordx4 s[0:3], s[4:5], 0x70
	s_load_dwordx8 s[12:19], s[4:5], 0x18
	s_load_dwordx2 s[10:11], s[4:5], 0x68
	s_waitcnt lgkmcnt(0)
	s_add_i32 s9, s1, s7
	s_sub_i32 s1, 0, s0
	s_max_i32 s6, s0, 0
	v_max_i32_e32 v0, s0, v2
	s_add_i32 s0, s0, s12
	s_add_i32 s8, s2, s8
	s_max_i32 s1, s1, 0
	s_load_dwordx2 s[2:3], s[4:5], 0x0
	s_add_i32 s0, s0, -1
	v_min_i32_e32 v0, s0, v0
	s_sub_i32 s0, s1, s6
	v_add_u32_e32 v0, s0, v0
	s_mul_i32 s0, s15, s8
	s_mul_hi_u32 s1, s14, s8
	s_add_i32 s1, s1, s0
	s_mul_i32 s0, s14, s8
	s_lshl_b64 s[0:1], s[0:1], 1
	s_waitcnt lgkmcnt(0)
	s_add_u32 s6, s2, s0
	v_ashrrev_i32_e32 v1, 31, v0
	s_addc_u32 s7, s3, s1
	v_mul_lo_u32 v4, s18, v1
	v_mul_lo_u32 v5, s19, v0
	v_mad_u64_u32 v[0:1], s[2:3], s18, v0, 0
	s_mul_i32 s0, s17, s9
	s_mul_hi_u32 s1, s16, s9
	s_add_i32 s1, s1, s0
	s_mul_i32 s0, s16, s9
	s_lshl_b64 s[0:1], s[0:1], 1
	v_add3_u32 v1, v1, v4, v5
	s_add_u32 s0, s6, s0
	v_lshlrev_b64 v[0:1], 1, v[0:1]
	s_addc_u32 s1, s7, s1
	v_mov_b32_e32 v4, s1
	v_add_co_u32_e32 v0, vcc, s0, v0
	v_addc_co_u32_e32 v1, vcc, v4, v1, vcc
	global_load_ushort v4, v[0:1], off
	s_load_dwordx4 s[0:3], s[4:5], 0x58
	s_load_dwordx2 s[6:7], s[4:5], 0x38
	v_mul_lo_u32 v5, s11, v2
	v_mul_lo_u32 v3, s10, v3
	s_waitcnt lgkmcnt(0)
	s_mul_i32 s1, s1, s8
	s_mul_hi_u32 s4, s0, s8
	s_add_i32 s1, s4, s1
	s_mul_i32 s0, s0, s8
	s_lshl_b64 s[0:1], s[0:1], 1
	s_add_u32 s4, s6, s0
	s_addc_u32 s5, s7, s1
	s_mul_i32 s0, s3, s9
	s_mul_hi_u32 s1, s2, s9
	s_add_i32 s1, s1, s0
	s_mul_i32 s0, s2, s9
	v_mad_u64_u32 v[0:1], s[2:3], s10, v2, 0
	s_lshl_b64 s[0:1], s[0:1], 1
	s_add_u32 s0, s4, s0
	v_add3_u32 v1, v1, v3, v5
	v_lshlrev_b64 v[0:1], 1, v[0:1]
	s_addc_u32 s1, s5, s1
	v_mov_b32_e32 v2, s1
	v_add_co_u32_e32 v0, vcc, s0, v0
	v_addc_co_u32_e32 v1, vcc, v2, v1, vcc
	s_waitcnt vmcnt(0)
	global_store_short v[0:1], v4, off
.LBB16_6:
	s_endpgm
	.section	.rodata,"a",@progbits
	.p2align	6, 0x0
	.amdhsa_kernel _ZN2at6native12_GLOBAL__N_132replication_pad_forward_kernel1dIsEEvN5torch10headeronly6detail27GenericPackedTensorAccessorINS5_14TensorAccessorIN3c108ArrayRefIlEEKT_Lm2ENS4_16DefaultPtrTraitsElEENS_6detail16IndexBoundsCheckILm3ElEESC_Lm3ESD_lEENS6_INS7_ISA_SB_Lm2ESD_lEESH_SB_Lm3ESD_lEEiii
		.amdhsa_group_segment_fixed_size 0
		.amdhsa_private_segment_fixed_size 0
		.amdhsa_kernarg_size 384
		.amdhsa_user_sgpr_count 6
		.amdhsa_user_sgpr_private_segment_buffer 1
		.amdhsa_user_sgpr_dispatch_ptr 0
		.amdhsa_user_sgpr_queue_ptr 0
		.amdhsa_user_sgpr_kernarg_segment_ptr 1
		.amdhsa_user_sgpr_dispatch_id 0
		.amdhsa_user_sgpr_flat_scratch_init 0
		.amdhsa_user_sgpr_private_segment_size 0
		.amdhsa_uses_dynamic_stack 0
		.amdhsa_system_sgpr_private_segment_wavefront_offset 0
		.amdhsa_system_sgpr_workgroup_id_x 1
		.amdhsa_system_sgpr_workgroup_id_y 1
		.amdhsa_system_sgpr_workgroup_id_z 1
		.amdhsa_system_sgpr_workgroup_info 0
		.amdhsa_system_vgpr_workitem_id 0
		.amdhsa_next_free_vgpr 9
		.amdhsa_next_free_sgpr 20
		.amdhsa_reserve_vcc 1
		.amdhsa_reserve_flat_scratch 0
		.amdhsa_float_round_mode_32 0
		.amdhsa_float_round_mode_16_64 0
		.amdhsa_float_denorm_mode_32 3
		.amdhsa_float_denorm_mode_16_64 3
		.amdhsa_dx10_clamp 1
		.amdhsa_ieee_mode 1
		.amdhsa_fp16_overflow 0
		.amdhsa_exception_fp_ieee_invalid_op 0
		.amdhsa_exception_fp_denorm_src 0
		.amdhsa_exception_fp_ieee_div_zero 0
		.amdhsa_exception_fp_ieee_overflow 0
		.amdhsa_exception_fp_ieee_underflow 0
		.amdhsa_exception_fp_ieee_inexact 0
		.amdhsa_exception_int_div_zero 0
	.end_amdhsa_kernel
	.section	.text._ZN2at6native12_GLOBAL__N_132replication_pad_forward_kernel1dIsEEvN5torch10headeronly6detail27GenericPackedTensorAccessorINS5_14TensorAccessorIN3c108ArrayRefIlEEKT_Lm2ENS4_16DefaultPtrTraitsElEENS_6detail16IndexBoundsCheckILm3ElEESC_Lm3ESD_lEENS6_INS7_ISA_SB_Lm2ESD_lEESH_SB_Lm3ESD_lEEiii,"axG",@progbits,_ZN2at6native12_GLOBAL__N_132replication_pad_forward_kernel1dIsEEvN5torch10headeronly6detail27GenericPackedTensorAccessorINS5_14TensorAccessorIN3c108ArrayRefIlEEKT_Lm2ENS4_16DefaultPtrTraitsElEENS_6detail16IndexBoundsCheckILm3ElEESC_Lm3ESD_lEENS6_INS7_ISA_SB_Lm2ESD_lEESH_SB_Lm3ESD_lEEiii,comdat
.Lfunc_end16:
	.size	_ZN2at6native12_GLOBAL__N_132replication_pad_forward_kernel1dIsEEvN5torch10headeronly6detail27GenericPackedTensorAccessorINS5_14TensorAccessorIN3c108ArrayRefIlEEKT_Lm2ENS4_16DefaultPtrTraitsElEENS_6detail16IndexBoundsCheckILm3ElEESC_Lm3ESD_lEENS6_INS7_ISA_SB_Lm2ESD_lEESH_SB_Lm3ESD_lEEiii, .Lfunc_end16-_ZN2at6native12_GLOBAL__N_132replication_pad_forward_kernel1dIsEEvN5torch10headeronly6detail27GenericPackedTensorAccessorINS5_14TensorAccessorIN3c108ArrayRefIlEEKT_Lm2ENS4_16DefaultPtrTraitsElEENS_6detail16IndexBoundsCheckILm3ElEESC_Lm3ESD_lEENS6_INS7_ISA_SB_Lm2ESD_lEESH_SB_Lm3ESD_lEEiii
                                        ; -- End function
	.set _ZN2at6native12_GLOBAL__N_132replication_pad_forward_kernel1dIsEEvN5torch10headeronly6detail27GenericPackedTensorAccessorINS5_14TensorAccessorIN3c108ArrayRefIlEEKT_Lm2ENS4_16DefaultPtrTraitsElEENS_6detail16IndexBoundsCheckILm3ElEESC_Lm3ESD_lEENS6_INS7_ISA_SB_Lm2ESD_lEESH_SB_Lm3ESD_lEEiii.num_vgpr, 9
	.set _ZN2at6native12_GLOBAL__N_132replication_pad_forward_kernel1dIsEEvN5torch10headeronly6detail27GenericPackedTensorAccessorINS5_14TensorAccessorIN3c108ArrayRefIlEEKT_Lm2ENS4_16DefaultPtrTraitsElEENS_6detail16IndexBoundsCheckILm3ElEESC_Lm3ESD_lEENS6_INS7_ISA_SB_Lm2ESD_lEESH_SB_Lm3ESD_lEEiii.num_agpr, 0
	.set _ZN2at6native12_GLOBAL__N_132replication_pad_forward_kernel1dIsEEvN5torch10headeronly6detail27GenericPackedTensorAccessorINS5_14TensorAccessorIN3c108ArrayRefIlEEKT_Lm2ENS4_16DefaultPtrTraitsElEENS_6detail16IndexBoundsCheckILm3ElEESC_Lm3ESD_lEENS6_INS7_ISA_SB_Lm2ESD_lEESH_SB_Lm3ESD_lEEiii.numbered_sgpr, 20
	.set _ZN2at6native12_GLOBAL__N_132replication_pad_forward_kernel1dIsEEvN5torch10headeronly6detail27GenericPackedTensorAccessorINS5_14TensorAccessorIN3c108ArrayRefIlEEKT_Lm2ENS4_16DefaultPtrTraitsElEENS_6detail16IndexBoundsCheckILm3ElEESC_Lm3ESD_lEENS6_INS7_ISA_SB_Lm2ESD_lEESH_SB_Lm3ESD_lEEiii.num_named_barrier, 0
	.set _ZN2at6native12_GLOBAL__N_132replication_pad_forward_kernel1dIsEEvN5torch10headeronly6detail27GenericPackedTensorAccessorINS5_14TensorAccessorIN3c108ArrayRefIlEEKT_Lm2ENS4_16DefaultPtrTraitsElEENS_6detail16IndexBoundsCheckILm3ElEESC_Lm3ESD_lEENS6_INS7_ISA_SB_Lm2ESD_lEESH_SB_Lm3ESD_lEEiii.private_seg_size, 0
	.set _ZN2at6native12_GLOBAL__N_132replication_pad_forward_kernel1dIsEEvN5torch10headeronly6detail27GenericPackedTensorAccessorINS5_14TensorAccessorIN3c108ArrayRefIlEEKT_Lm2ENS4_16DefaultPtrTraitsElEENS_6detail16IndexBoundsCheckILm3ElEESC_Lm3ESD_lEENS6_INS7_ISA_SB_Lm2ESD_lEESH_SB_Lm3ESD_lEEiii.uses_vcc, 1
	.set _ZN2at6native12_GLOBAL__N_132replication_pad_forward_kernel1dIsEEvN5torch10headeronly6detail27GenericPackedTensorAccessorINS5_14TensorAccessorIN3c108ArrayRefIlEEKT_Lm2ENS4_16DefaultPtrTraitsElEENS_6detail16IndexBoundsCheckILm3ElEESC_Lm3ESD_lEENS6_INS7_ISA_SB_Lm2ESD_lEESH_SB_Lm3ESD_lEEiii.uses_flat_scratch, 0
	.set _ZN2at6native12_GLOBAL__N_132replication_pad_forward_kernel1dIsEEvN5torch10headeronly6detail27GenericPackedTensorAccessorINS5_14TensorAccessorIN3c108ArrayRefIlEEKT_Lm2ENS4_16DefaultPtrTraitsElEENS_6detail16IndexBoundsCheckILm3ElEESC_Lm3ESD_lEENS6_INS7_ISA_SB_Lm2ESD_lEESH_SB_Lm3ESD_lEEiii.has_dyn_sized_stack, 0
	.set _ZN2at6native12_GLOBAL__N_132replication_pad_forward_kernel1dIsEEvN5torch10headeronly6detail27GenericPackedTensorAccessorINS5_14TensorAccessorIN3c108ArrayRefIlEEKT_Lm2ENS4_16DefaultPtrTraitsElEENS_6detail16IndexBoundsCheckILm3ElEESC_Lm3ESD_lEENS6_INS7_ISA_SB_Lm2ESD_lEESH_SB_Lm3ESD_lEEiii.has_recursion, 0
	.set _ZN2at6native12_GLOBAL__N_132replication_pad_forward_kernel1dIsEEvN5torch10headeronly6detail27GenericPackedTensorAccessorINS5_14TensorAccessorIN3c108ArrayRefIlEEKT_Lm2ENS4_16DefaultPtrTraitsElEENS_6detail16IndexBoundsCheckILm3ElEESC_Lm3ESD_lEENS6_INS7_ISA_SB_Lm2ESD_lEESH_SB_Lm3ESD_lEEiii.has_indirect_call, 0
	.section	.AMDGPU.csdata,"",@progbits
; Kernel info:
; codeLenInByte = 1076
; TotalNumSgprs: 24
; NumVgprs: 9
; ScratchSize: 0
; MemoryBound: 0
; FloatMode: 240
; IeeeMode: 1
; LDSByteSize: 0 bytes/workgroup (compile time only)
; SGPRBlocks: 2
; VGPRBlocks: 2
; NumSGPRsForWavesPerEU: 24
; NumVGPRsForWavesPerEU: 9
; Occupancy: 10
; WaveLimiterHint : 1
; COMPUTE_PGM_RSRC2:SCRATCH_EN: 0
; COMPUTE_PGM_RSRC2:USER_SGPR: 6
; COMPUTE_PGM_RSRC2:TRAP_HANDLER: 0
; COMPUTE_PGM_RSRC2:TGID_X_EN: 1
; COMPUTE_PGM_RSRC2:TGID_Y_EN: 1
; COMPUTE_PGM_RSRC2:TGID_Z_EN: 1
; COMPUTE_PGM_RSRC2:TIDIG_COMP_CNT: 0
	.section	.text._ZN2at6native12_GLOBAL__N_132replication_pad_forward_kernel1dIdEEvN5torch10headeronly6detail27GenericPackedTensorAccessorINS5_14TensorAccessorIN3c108ArrayRefIlEEKT_Lm2ENS4_16DefaultPtrTraitsElEENS_6detail16IndexBoundsCheckILm3ElEESC_Lm3ESD_lEENS6_INS7_ISA_SB_Lm2ESD_lEESH_SB_Lm3ESD_lEEiii,"axG",@progbits,_ZN2at6native12_GLOBAL__N_132replication_pad_forward_kernel1dIdEEvN5torch10headeronly6detail27GenericPackedTensorAccessorINS5_14TensorAccessorIN3c108ArrayRefIlEEKT_Lm2ENS4_16DefaultPtrTraitsElEENS_6detail16IndexBoundsCheckILm3ElEESC_Lm3ESD_lEENS6_INS7_ISA_SB_Lm2ESD_lEESH_SB_Lm3ESD_lEEiii,comdat
	.globl	_ZN2at6native12_GLOBAL__N_132replication_pad_forward_kernel1dIdEEvN5torch10headeronly6detail27GenericPackedTensorAccessorINS5_14TensorAccessorIN3c108ArrayRefIlEEKT_Lm2ENS4_16DefaultPtrTraitsElEENS_6detail16IndexBoundsCheckILm3ElEESC_Lm3ESD_lEENS6_INS7_ISA_SB_Lm2ESD_lEESH_SB_Lm3ESD_lEEiii ; -- Begin function _ZN2at6native12_GLOBAL__N_132replication_pad_forward_kernel1dIdEEvN5torch10headeronly6detail27GenericPackedTensorAccessorINS5_14TensorAccessorIN3c108ArrayRefIlEEKT_Lm2ENS4_16DefaultPtrTraitsElEENS_6detail16IndexBoundsCheckILm3ElEESC_Lm3ESD_lEENS6_INS7_ISA_SB_Lm2ESD_lEESH_SB_Lm3ESD_lEEiii
	.p2align	8
	.type	_ZN2at6native12_GLOBAL__N_132replication_pad_forward_kernel1dIdEEvN5torch10headeronly6detail27GenericPackedTensorAccessorINS5_14TensorAccessorIN3c108ArrayRefIlEEKT_Lm2ENS4_16DefaultPtrTraitsElEENS_6detail16IndexBoundsCheckILm3ElEESC_Lm3ESD_lEENS6_INS7_ISA_SB_Lm2ESD_lEESH_SB_Lm3ESD_lEEiii,@function
_ZN2at6native12_GLOBAL__N_132replication_pad_forward_kernel1dIdEEvN5torch10headeronly6detail27GenericPackedTensorAccessorINS5_14TensorAccessorIN3c108ArrayRefIlEEKT_Lm2ENS4_16DefaultPtrTraitsElEENS_6detail16IndexBoundsCheckILm3ElEESC_Lm3ESD_lEENS6_INS7_ISA_SB_Lm2ESD_lEESH_SB_Lm3ESD_lEEiii: ; @_ZN2at6native12_GLOBAL__N_132replication_pad_forward_kernel1dIdEEvN5torch10headeronly6detail27GenericPackedTensorAccessorINS5_14TensorAccessorIN3c108ArrayRefIlEEKT_Lm2ENS4_16DefaultPtrTraitsElEENS_6detail16IndexBoundsCheckILm3ElEESC_Lm3ESD_lEENS6_INS7_ISA_SB_Lm2ESD_lEESH_SB_Lm3ESD_lEEiii
; %bb.0:
	s_load_dword s0, s[4:5], 0x8c
	s_load_dwordx2 s[10:11], s[4:5], 0x50
	v_mov_b32_e32 v2, 0
	v_mov_b32_e32 v1, v2
	;; [unrolled: 1-line block ×3, first 2 shown]
	s_waitcnt lgkmcnt(0)
	s_and_b32 s0, s0, 0xffff
	v_mad_u64_u32 v[0:1], s[0:1], s0, v3, v[0:1]
	v_cmp_gt_i64_e32 vcc, s[10:11], v[0:1]
	s_and_saveexec_b64 s[0:1], vcc
	s_cbranch_execz .LBB17_6
; %bb.1:
	v_or_b32_e32 v3, s11, v1
	v_cmp_ne_u64_e32 vcc, 0, v[2:3]
                                        ; implicit-def: $vgpr2_vgpr3
	s_and_saveexec_b64 s[0:1], vcc
	s_xor_b64 s[12:13], exec, s[0:1]
	s_cbranch_execz .LBB17_3
; %bb.2:
	v_cvt_f32_u32_e32 v2, s10
	v_cvt_f32_u32_e32 v3, s11
	s_sub_u32 s2, 0, s10
	s_subb_u32 s3, 0, s11
	v_madmk_f32 v2, v3, 0x4f800000, v2
	v_rcp_f32_e32 v2, v2
	v_mul_f32_e32 v2, 0x5f7ffffc, v2
	v_mul_f32_e32 v3, 0x2f800000, v2
	v_trunc_f32_e32 v3, v3
	v_madmk_f32 v2, v3, 0xcf800000, v2
	v_cvt_u32_f32_e32 v3, v3
	v_cvt_u32_f32_e32 v2, v2
	v_readfirstlane_b32 s6, v3
	v_readfirstlane_b32 s0, v2
	s_mul_i32 s1, s2, s6
	s_mul_hi_u32 s14, s2, s0
	s_mul_i32 s9, s3, s0
	s_add_i32 s1, s14, s1
	s_mul_i32 s15, s2, s0
	s_add_i32 s1, s1, s9
	s_mul_i32 s14, s0, s1
	s_mul_hi_u32 s16, s0, s15
	s_mul_hi_u32 s9, s0, s1
	s_add_u32 s14, s16, s14
	s_addc_u32 s9, 0, s9
	s_mul_hi_u32 s17, s6, s15
	s_mul_i32 s15, s6, s15
	s_add_u32 s14, s14, s15
	s_mul_hi_u32 s16, s6, s1
	s_addc_u32 s9, s9, s17
	s_addc_u32 s14, s16, 0
	s_mul_i32 s1, s6, s1
	s_add_u32 s1, s9, s1
	s_addc_u32 s9, 0, s14
	s_add_u32 s14, s0, s1
	s_cselect_b64 s[0:1], -1, 0
	s_cmp_lg_u64 s[0:1], 0
	s_addc_u32 s6, s6, s9
	s_mul_i32 s0, s2, s6
	s_mul_hi_u32 s1, s2, s14
	s_add_i32 s0, s1, s0
	s_mul_i32 s3, s3, s14
	s_add_i32 s0, s0, s3
	s_mul_i32 s2, s2, s14
	s_mul_hi_u32 s3, s6, s2
	s_mul_i32 s9, s6, s2
	s_mul_i32 s16, s14, s0
	s_mul_hi_u32 s2, s14, s2
	s_mul_hi_u32 s15, s14, s0
	s_add_u32 s2, s2, s16
	s_addc_u32 s15, 0, s15
	s_add_u32 s2, s2, s9
	s_mul_hi_u32 s1, s6, s0
	s_addc_u32 s2, s15, s3
	s_addc_u32 s1, s1, 0
	s_mul_i32 s0, s6, s0
	s_add_u32 s0, s2, s0
	s_addc_u32 s2, 0, s1
	s_add_u32 s3, s14, s0
	s_cselect_b64 s[0:1], -1, 0
	s_cmp_lg_u64 s[0:1], 0
	s_addc_u32 s2, s6, s2
	v_mad_u64_u32 v[2:3], s[0:1], v0, s2, 0
	v_mul_hi_u32 v4, v0, s3
	v_add_co_u32_e32 v6, vcc, v4, v2
	v_addc_co_u32_e32 v7, vcc, 0, v3, vcc
	v_mad_u64_u32 v[2:3], s[0:1], v1, s3, 0
	v_mad_u64_u32 v[4:5], s[0:1], v1, s2, 0
	v_add_co_u32_e32 v2, vcc, v6, v2
	v_addc_co_u32_e32 v2, vcc, v7, v3, vcc
	v_addc_co_u32_e32 v3, vcc, 0, v5, vcc
	v_add_co_u32_e32 v2, vcc, v2, v4
	v_addc_co_u32_e32 v3, vcc, 0, v3, vcc
	v_mul_lo_u32 v4, s11, v2
	v_mul_lo_u32 v5, s10, v3
	v_mad_u64_u32 v[2:3], s[0:1], s10, v2, 0
	v_add3_u32 v3, v3, v5, v4
	v_sub_u32_e32 v4, v1, v3
	v_mov_b32_e32 v5, s11
	v_sub_co_u32_e32 v0, vcc, v0, v2
	v_subb_co_u32_e64 v2, s[0:1], v4, v5, vcc
	v_subrev_co_u32_e64 v4, s[0:1], s10, v0
	v_subbrev_co_u32_e64 v6, s[2:3], 0, v2, s[0:1]
	v_cmp_le_u32_e64 s[2:3], s11, v6
	v_cndmask_b32_e64 v7, 0, -1, s[2:3]
	v_cmp_le_u32_e64 s[2:3], s10, v4
	v_subb_co_u32_e64 v2, s[0:1], v2, v5, s[0:1]
	v_cndmask_b32_e64 v8, 0, -1, s[2:3]
	v_cmp_eq_u32_e64 s[2:3], s11, v6
	v_subrev_co_u32_e64 v5, s[0:1], s10, v4
	v_subb_co_u32_e32 v1, vcc, v1, v3, vcc
	v_cndmask_b32_e64 v7, v7, v8, s[2:3]
	v_subbrev_co_u32_e64 v2, s[0:1], 0, v2, s[0:1]
	v_cmp_le_u32_e32 vcc, s11, v1
	v_cmp_ne_u32_e64 s[0:1], 0, v7
	v_cndmask_b32_e64 v3, 0, -1, vcc
	v_cmp_le_u32_e32 vcc, s10, v0
	v_cndmask_b32_e64 v2, v6, v2, s[0:1]
	v_cndmask_b32_e64 v6, 0, -1, vcc
	v_cmp_eq_u32_e32 vcc, s11, v1
	v_cndmask_b32_e32 v3, v3, v6, vcc
	v_cmp_ne_u32_e32 vcc, 0, v3
	v_cndmask_b32_e32 v3, v1, v2, vcc
	v_cndmask_b32_e64 v1, v4, v5, s[0:1]
	v_cndmask_b32_e32 v2, v0, v1, vcc
                                        ; implicit-def: $vgpr0_vgpr1
.LBB17_3:
	s_andn2_saveexec_b64 s[0:1], s[12:13]
	s_cbranch_execz .LBB17_5
; %bb.4:
	v_cvt_f32_u32_e32 v1, s10
	s_sub_i32 s2, 0, s10
	v_mov_b32_e32 v3, 0
	v_rcp_iflag_f32_e32 v1, v1
	v_mul_f32_e32 v1, 0x4f7ffffe, v1
	v_cvt_u32_f32_e32 v1, v1
	v_mul_lo_u32 v2, s2, v1
	v_mul_hi_u32 v2, v1, v2
	v_add_u32_e32 v1, v1, v2
	v_mul_hi_u32 v1, v0, v1
	v_mul_lo_u32 v1, v1, s10
	v_sub_u32_e32 v0, v0, v1
	v_subrev_u32_e32 v1, s10, v0
	v_cmp_le_u32_e32 vcc, s10, v0
	v_cndmask_b32_e32 v0, v0, v1, vcc
	v_subrev_u32_e32 v1, s10, v0
	v_cmp_le_u32_e32 vcc, s10, v0
	v_cndmask_b32_e32 v2, v0, v1, vcc
.LBB17_5:
	s_or_b64 exec, exec, s[0:1]
	s_load_dwordx4 s[0:3], s[4:5], 0x70
	s_load_dwordx8 s[12:19], s[4:5], 0x18
	s_load_dwordx2 s[10:11], s[4:5], 0x68
	s_waitcnt lgkmcnt(0)
	s_add_i32 s9, s1, s7
	s_sub_i32 s1, 0, s0
	s_max_i32 s6, s0, 0
	v_max_i32_e32 v0, s0, v2
	s_add_i32 s0, s0, s12
	s_add_i32 s8, s2, s8
	s_max_i32 s1, s1, 0
	s_load_dwordx2 s[2:3], s[4:5], 0x0
	s_add_i32 s0, s0, -1
	v_min_i32_e32 v0, s0, v0
	s_sub_i32 s0, s1, s6
	v_add_u32_e32 v0, s0, v0
	s_mul_i32 s0, s15, s8
	s_mul_hi_u32 s1, s14, s8
	s_add_i32 s1, s1, s0
	s_mul_i32 s0, s14, s8
	s_lshl_b64 s[0:1], s[0:1], 3
	s_waitcnt lgkmcnt(0)
	s_add_u32 s6, s2, s0
	v_ashrrev_i32_e32 v1, 31, v0
	s_addc_u32 s7, s3, s1
	v_mul_lo_u32 v4, s18, v1
	v_mul_lo_u32 v5, s19, v0
	v_mad_u64_u32 v[0:1], s[2:3], s18, v0, 0
	s_mul_i32 s0, s17, s9
	s_mul_hi_u32 s1, s16, s9
	s_add_i32 s1, s1, s0
	s_mul_i32 s0, s16, s9
	s_lshl_b64 s[0:1], s[0:1], 3
	v_add3_u32 v1, v1, v4, v5
	s_add_u32 s0, s6, s0
	v_lshlrev_b64 v[0:1], 3, v[0:1]
	s_addc_u32 s1, s7, s1
	v_mov_b32_e32 v4, s1
	v_add_co_u32_e32 v0, vcc, s0, v0
	v_addc_co_u32_e32 v1, vcc, v4, v1, vcc
	global_load_dwordx2 v[0:1], v[0:1], off
	s_load_dwordx4 s[0:3], s[4:5], 0x58
	s_load_dwordx2 s[6:7], s[4:5], 0x38
	v_mul_lo_u32 v4, s11, v2
	v_mul_lo_u32 v5, s10, v3
	s_waitcnt lgkmcnt(0)
	s_mul_i32 s1, s1, s8
	s_mul_hi_u32 s4, s0, s8
	s_add_i32 s1, s4, s1
	s_mul_i32 s0, s0, s8
	s_lshl_b64 s[0:1], s[0:1], 3
	s_add_u32 s4, s6, s0
	s_addc_u32 s5, s7, s1
	s_mul_i32 s0, s3, s9
	s_mul_hi_u32 s1, s2, s9
	s_add_i32 s1, s1, s0
	s_mul_i32 s0, s2, s9
	v_mad_u64_u32 v[2:3], s[2:3], s10, v2, 0
	s_lshl_b64 s[0:1], s[0:1], 3
	s_add_u32 s0, s4, s0
	v_add3_u32 v3, v3, v5, v4
	v_lshlrev_b64 v[2:3], 3, v[2:3]
	s_addc_u32 s1, s5, s1
	v_mov_b32_e32 v4, s1
	v_add_co_u32_e32 v2, vcc, s0, v2
	v_addc_co_u32_e32 v3, vcc, v4, v3, vcc
	s_waitcnt vmcnt(0)
	global_store_dwordx2 v[2:3], v[0:1], off
.LBB17_6:
	s_endpgm
	.section	.rodata,"a",@progbits
	.p2align	6, 0x0
	.amdhsa_kernel _ZN2at6native12_GLOBAL__N_132replication_pad_forward_kernel1dIdEEvN5torch10headeronly6detail27GenericPackedTensorAccessorINS5_14TensorAccessorIN3c108ArrayRefIlEEKT_Lm2ENS4_16DefaultPtrTraitsElEENS_6detail16IndexBoundsCheckILm3ElEESC_Lm3ESD_lEENS6_INS7_ISA_SB_Lm2ESD_lEESH_SB_Lm3ESD_lEEiii
		.amdhsa_group_segment_fixed_size 0
		.amdhsa_private_segment_fixed_size 0
		.amdhsa_kernarg_size 384
		.amdhsa_user_sgpr_count 6
		.amdhsa_user_sgpr_private_segment_buffer 1
		.amdhsa_user_sgpr_dispatch_ptr 0
		.amdhsa_user_sgpr_queue_ptr 0
		.amdhsa_user_sgpr_kernarg_segment_ptr 1
		.amdhsa_user_sgpr_dispatch_id 0
		.amdhsa_user_sgpr_flat_scratch_init 0
		.amdhsa_user_sgpr_private_segment_size 0
		.amdhsa_uses_dynamic_stack 0
		.amdhsa_system_sgpr_private_segment_wavefront_offset 0
		.amdhsa_system_sgpr_workgroup_id_x 1
		.amdhsa_system_sgpr_workgroup_id_y 1
		.amdhsa_system_sgpr_workgroup_id_z 1
		.amdhsa_system_sgpr_workgroup_info 0
		.amdhsa_system_vgpr_workitem_id 0
		.amdhsa_next_free_vgpr 9
		.amdhsa_next_free_sgpr 20
		.amdhsa_reserve_vcc 1
		.amdhsa_reserve_flat_scratch 0
		.amdhsa_float_round_mode_32 0
		.amdhsa_float_round_mode_16_64 0
		.amdhsa_float_denorm_mode_32 3
		.amdhsa_float_denorm_mode_16_64 3
		.amdhsa_dx10_clamp 1
		.amdhsa_ieee_mode 1
		.amdhsa_fp16_overflow 0
		.amdhsa_exception_fp_ieee_invalid_op 0
		.amdhsa_exception_fp_denorm_src 0
		.amdhsa_exception_fp_ieee_div_zero 0
		.amdhsa_exception_fp_ieee_overflow 0
		.amdhsa_exception_fp_ieee_underflow 0
		.amdhsa_exception_fp_ieee_inexact 0
		.amdhsa_exception_int_div_zero 0
	.end_amdhsa_kernel
	.section	.text._ZN2at6native12_GLOBAL__N_132replication_pad_forward_kernel1dIdEEvN5torch10headeronly6detail27GenericPackedTensorAccessorINS5_14TensorAccessorIN3c108ArrayRefIlEEKT_Lm2ENS4_16DefaultPtrTraitsElEENS_6detail16IndexBoundsCheckILm3ElEESC_Lm3ESD_lEENS6_INS7_ISA_SB_Lm2ESD_lEESH_SB_Lm3ESD_lEEiii,"axG",@progbits,_ZN2at6native12_GLOBAL__N_132replication_pad_forward_kernel1dIdEEvN5torch10headeronly6detail27GenericPackedTensorAccessorINS5_14TensorAccessorIN3c108ArrayRefIlEEKT_Lm2ENS4_16DefaultPtrTraitsElEENS_6detail16IndexBoundsCheckILm3ElEESC_Lm3ESD_lEENS6_INS7_ISA_SB_Lm2ESD_lEESH_SB_Lm3ESD_lEEiii,comdat
.Lfunc_end17:
	.size	_ZN2at6native12_GLOBAL__N_132replication_pad_forward_kernel1dIdEEvN5torch10headeronly6detail27GenericPackedTensorAccessorINS5_14TensorAccessorIN3c108ArrayRefIlEEKT_Lm2ENS4_16DefaultPtrTraitsElEENS_6detail16IndexBoundsCheckILm3ElEESC_Lm3ESD_lEENS6_INS7_ISA_SB_Lm2ESD_lEESH_SB_Lm3ESD_lEEiii, .Lfunc_end17-_ZN2at6native12_GLOBAL__N_132replication_pad_forward_kernel1dIdEEvN5torch10headeronly6detail27GenericPackedTensorAccessorINS5_14TensorAccessorIN3c108ArrayRefIlEEKT_Lm2ENS4_16DefaultPtrTraitsElEENS_6detail16IndexBoundsCheckILm3ElEESC_Lm3ESD_lEENS6_INS7_ISA_SB_Lm2ESD_lEESH_SB_Lm3ESD_lEEiii
                                        ; -- End function
	.set _ZN2at6native12_GLOBAL__N_132replication_pad_forward_kernel1dIdEEvN5torch10headeronly6detail27GenericPackedTensorAccessorINS5_14TensorAccessorIN3c108ArrayRefIlEEKT_Lm2ENS4_16DefaultPtrTraitsElEENS_6detail16IndexBoundsCheckILm3ElEESC_Lm3ESD_lEENS6_INS7_ISA_SB_Lm2ESD_lEESH_SB_Lm3ESD_lEEiii.num_vgpr, 9
	.set _ZN2at6native12_GLOBAL__N_132replication_pad_forward_kernel1dIdEEvN5torch10headeronly6detail27GenericPackedTensorAccessorINS5_14TensorAccessorIN3c108ArrayRefIlEEKT_Lm2ENS4_16DefaultPtrTraitsElEENS_6detail16IndexBoundsCheckILm3ElEESC_Lm3ESD_lEENS6_INS7_ISA_SB_Lm2ESD_lEESH_SB_Lm3ESD_lEEiii.num_agpr, 0
	.set _ZN2at6native12_GLOBAL__N_132replication_pad_forward_kernel1dIdEEvN5torch10headeronly6detail27GenericPackedTensorAccessorINS5_14TensorAccessorIN3c108ArrayRefIlEEKT_Lm2ENS4_16DefaultPtrTraitsElEENS_6detail16IndexBoundsCheckILm3ElEESC_Lm3ESD_lEENS6_INS7_ISA_SB_Lm2ESD_lEESH_SB_Lm3ESD_lEEiii.numbered_sgpr, 20
	.set _ZN2at6native12_GLOBAL__N_132replication_pad_forward_kernel1dIdEEvN5torch10headeronly6detail27GenericPackedTensorAccessorINS5_14TensorAccessorIN3c108ArrayRefIlEEKT_Lm2ENS4_16DefaultPtrTraitsElEENS_6detail16IndexBoundsCheckILm3ElEESC_Lm3ESD_lEENS6_INS7_ISA_SB_Lm2ESD_lEESH_SB_Lm3ESD_lEEiii.num_named_barrier, 0
	.set _ZN2at6native12_GLOBAL__N_132replication_pad_forward_kernel1dIdEEvN5torch10headeronly6detail27GenericPackedTensorAccessorINS5_14TensorAccessorIN3c108ArrayRefIlEEKT_Lm2ENS4_16DefaultPtrTraitsElEENS_6detail16IndexBoundsCheckILm3ElEESC_Lm3ESD_lEENS6_INS7_ISA_SB_Lm2ESD_lEESH_SB_Lm3ESD_lEEiii.private_seg_size, 0
	.set _ZN2at6native12_GLOBAL__N_132replication_pad_forward_kernel1dIdEEvN5torch10headeronly6detail27GenericPackedTensorAccessorINS5_14TensorAccessorIN3c108ArrayRefIlEEKT_Lm2ENS4_16DefaultPtrTraitsElEENS_6detail16IndexBoundsCheckILm3ElEESC_Lm3ESD_lEENS6_INS7_ISA_SB_Lm2ESD_lEESH_SB_Lm3ESD_lEEiii.uses_vcc, 1
	.set _ZN2at6native12_GLOBAL__N_132replication_pad_forward_kernel1dIdEEvN5torch10headeronly6detail27GenericPackedTensorAccessorINS5_14TensorAccessorIN3c108ArrayRefIlEEKT_Lm2ENS4_16DefaultPtrTraitsElEENS_6detail16IndexBoundsCheckILm3ElEESC_Lm3ESD_lEENS6_INS7_ISA_SB_Lm2ESD_lEESH_SB_Lm3ESD_lEEiii.uses_flat_scratch, 0
	.set _ZN2at6native12_GLOBAL__N_132replication_pad_forward_kernel1dIdEEvN5torch10headeronly6detail27GenericPackedTensorAccessorINS5_14TensorAccessorIN3c108ArrayRefIlEEKT_Lm2ENS4_16DefaultPtrTraitsElEENS_6detail16IndexBoundsCheckILm3ElEESC_Lm3ESD_lEENS6_INS7_ISA_SB_Lm2ESD_lEESH_SB_Lm3ESD_lEEiii.has_dyn_sized_stack, 0
	.set _ZN2at6native12_GLOBAL__N_132replication_pad_forward_kernel1dIdEEvN5torch10headeronly6detail27GenericPackedTensorAccessorINS5_14TensorAccessorIN3c108ArrayRefIlEEKT_Lm2ENS4_16DefaultPtrTraitsElEENS_6detail16IndexBoundsCheckILm3ElEESC_Lm3ESD_lEENS6_INS7_ISA_SB_Lm2ESD_lEESH_SB_Lm3ESD_lEEiii.has_recursion, 0
	.set _ZN2at6native12_GLOBAL__N_132replication_pad_forward_kernel1dIdEEvN5torch10headeronly6detail27GenericPackedTensorAccessorINS5_14TensorAccessorIN3c108ArrayRefIlEEKT_Lm2ENS4_16DefaultPtrTraitsElEENS_6detail16IndexBoundsCheckILm3ElEESC_Lm3ESD_lEENS6_INS7_ISA_SB_Lm2ESD_lEESH_SB_Lm3ESD_lEEiii.has_indirect_call, 0
	.section	.AMDGPU.csdata,"",@progbits
; Kernel info:
; codeLenInByte = 1076
; TotalNumSgprs: 24
; NumVgprs: 9
; ScratchSize: 0
; MemoryBound: 0
; FloatMode: 240
; IeeeMode: 1
; LDSByteSize: 0 bytes/workgroup (compile time only)
; SGPRBlocks: 2
; VGPRBlocks: 2
; NumSGPRsForWavesPerEU: 24
; NumVGPRsForWavesPerEU: 9
; Occupancy: 10
; WaveLimiterHint : 1
; COMPUTE_PGM_RSRC2:SCRATCH_EN: 0
; COMPUTE_PGM_RSRC2:USER_SGPR: 6
; COMPUTE_PGM_RSRC2:TRAP_HANDLER: 0
; COMPUTE_PGM_RSRC2:TGID_X_EN: 1
; COMPUTE_PGM_RSRC2:TGID_Y_EN: 1
; COMPUTE_PGM_RSRC2:TGID_Z_EN: 1
; COMPUTE_PGM_RSRC2:TIDIG_COMP_CNT: 0
	.section	.text._ZN2at6native12_GLOBAL__N_132replication_pad_forward_kernel1dIfEEvN5torch10headeronly6detail27GenericPackedTensorAccessorINS5_14TensorAccessorIN3c108ArrayRefIlEEKT_Lm2ENS4_16DefaultPtrTraitsElEENS_6detail16IndexBoundsCheckILm3ElEESC_Lm3ESD_lEENS6_INS7_ISA_SB_Lm2ESD_lEESH_SB_Lm3ESD_lEEiii,"axG",@progbits,_ZN2at6native12_GLOBAL__N_132replication_pad_forward_kernel1dIfEEvN5torch10headeronly6detail27GenericPackedTensorAccessorINS5_14TensorAccessorIN3c108ArrayRefIlEEKT_Lm2ENS4_16DefaultPtrTraitsElEENS_6detail16IndexBoundsCheckILm3ElEESC_Lm3ESD_lEENS6_INS7_ISA_SB_Lm2ESD_lEESH_SB_Lm3ESD_lEEiii,comdat
	.globl	_ZN2at6native12_GLOBAL__N_132replication_pad_forward_kernel1dIfEEvN5torch10headeronly6detail27GenericPackedTensorAccessorINS5_14TensorAccessorIN3c108ArrayRefIlEEKT_Lm2ENS4_16DefaultPtrTraitsElEENS_6detail16IndexBoundsCheckILm3ElEESC_Lm3ESD_lEENS6_INS7_ISA_SB_Lm2ESD_lEESH_SB_Lm3ESD_lEEiii ; -- Begin function _ZN2at6native12_GLOBAL__N_132replication_pad_forward_kernel1dIfEEvN5torch10headeronly6detail27GenericPackedTensorAccessorINS5_14TensorAccessorIN3c108ArrayRefIlEEKT_Lm2ENS4_16DefaultPtrTraitsElEENS_6detail16IndexBoundsCheckILm3ElEESC_Lm3ESD_lEENS6_INS7_ISA_SB_Lm2ESD_lEESH_SB_Lm3ESD_lEEiii
	.p2align	8
	.type	_ZN2at6native12_GLOBAL__N_132replication_pad_forward_kernel1dIfEEvN5torch10headeronly6detail27GenericPackedTensorAccessorINS5_14TensorAccessorIN3c108ArrayRefIlEEKT_Lm2ENS4_16DefaultPtrTraitsElEENS_6detail16IndexBoundsCheckILm3ElEESC_Lm3ESD_lEENS6_INS7_ISA_SB_Lm2ESD_lEESH_SB_Lm3ESD_lEEiii,@function
_ZN2at6native12_GLOBAL__N_132replication_pad_forward_kernel1dIfEEvN5torch10headeronly6detail27GenericPackedTensorAccessorINS5_14TensorAccessorIN3c108ArrayRefIlEEKT_Lm2ENS4_16DefaultPtrTraitsElEENS_6detail16IndexBoundsCheckILm3ElEESC_Lm3ESD_lEENS6_INS7_ISA_SB_Lm2ESD_lEESH_SB_Lm3ESD_lEEiii: ; @_ZN2at6native12_GLOBAL__N_132replication_pad_forward_kernel1dIfEEvN5torch10headeronly6detail27GenericPackedTensorAccessorINS5_14TensorAccessorIN3c108ArrayRefIlEEKT_Lm2ENS4_16DefaultPtrTraitsElEENS_6detail16IndexBoundsCheckILm3ElEESC_Lm3ESD_lEENS6_INS7_ISA_SB_Lm2ESD_lEESH_SB_Lm3ESD_lEEiii
; %bb.0:
	s_load_dword s0, s[4:5], 0x8c
	s_load_dwordx2 s[10:11], s[4:5], 0x50
	v_mov_b32_e32 v2, 0
	v_mov_b32_e32 v1, v2
	;; [unrolled: 1-line block ×3, first 2 shown]
	s_waitcnt lgkmcnt(0)
	s_and_b32 s0, s0, 0xffff
	v_mad_u64_u32 v[0:1], s[0:1], s0, v3, v[0:1]
	v_cmp_gt_i64_e32 vcc, s[10:11], v[0:1]
	s_and_saveexec_b64 s[0:1], vcc
	s_cbranch_execz .LBB18_6
; %bb.1:
	v_or_b32_e32 v3, s11, v1
	v_cmp_ne_u64_e32 vcc, 0, v[2:3]
                                        ; implicit-def: $vgpr2_vgpr3
	s_and_saveexec_b64 s[0:1], vcc
	s_xor_b64 s[12:13], exec, s[0:1]
	s_cbranch_execz .LBB18_3
; %bb.2:
	v_cvt_f32_u32_e32 v2, s10
	v_cvt_f32_u32_e32 v3, s11
	s_sub_u32 s2, 0, s10
	s_subb_u32 s3, 0, s11
	v_madmk_f32 v2, v3, 0x4f800000, v2
	v_rcp_f32_e32 v2, v2
	v_mul_f32_e32 v2, 0x5f7ffffc, v2
	v_mul_f32_e32 v3, 0x2f800000, v2
	v_trunc_f32_e32 v3, v3
	v_madmk_f32 v2, v3, 0xcf800000, v2
	v_cvt_u32_f32_e32 v3, v3
	v_cvt_u32_f32_e32 v2, v2
	v_readfirstlane_b32 s6, v3
	v_readfirstlane_b32 s0, v2
	s_mul_i32 s1, s2, s6
	s_mul_hi_u32 s14, s2, s0
	s_mul_i32 s9, s3, s0
	s_add_i32 s1, s14, s1
	s_mul_i32 s15, s2, s0
	s_add_i32 s1, s1, s9
	s_mul_i32 s14, s0, s1
	s_mul_hi_u32 s16, s0, s15
	s_mul_hi_u32 s9, s0, s1
	s_add_u32 s14, s16, s14
	s_addc_u32 s9, 0, s9
	s_mul_hi_u32 s17, s6, s15
	s_mul_i32 s15, s6, s15
	s_add_u32 s14, s14, s15
	s_mul_hi_u32 s16, s6, s1
	s_addc_u32 s9, s9, s17
	s_addc_u32 s14, s16, 0
	s_mul_i32 s1, s6, s1
	s_add_u32 s1, s9, s1
	s_addc_u32 s9, 0, s14
	s_add_u32 s14, s0, s1
	s_cselect_b64 s[0:1], -1, 0
	s_cmp_lg_u64 s[0:1], 0
	s_addc_u32 s6, s6, s9
	s_mul_i32 s0, s2, s6
	s_mul_hi_u32 s1, s2, s14
	s_add_i32 s0, s1, s0
	s_mul_i32 s3, s3, s14
	s_add_i32 s0, s0, s3
	s_mul_i32 s2, s2, s14
	s_mul_hi_u32 s3, s6, s2
	s_mul_i32 s9, s6, s2
	s_mul_i32 s16, s14, s0
	s_mul_hi_u32 s2, s14, s2
	s_mul_hi_u32 s15, s14, s0
	s_add_u32 s2, s2, s16
	s_addc_u32 s15, 0, s15
	s_add_u32 s2, s2, s9
	s_mul_hi_u32 s1, s6, s0
	s_addc_u32 s2, s15, s3
	s_addc_u32 s1, s1, 0
	s_mul_i32 s0, s6, s0
	s_add_u32 s0, s2, s0
	s_addc_u32 s2, 0, s1
	s_add_u32 s3, s14, s0
	s_cselect_b64 s[0:1], -1, 0
	s_cmp_lg_u64 s[0:1], 0
	s_addc_u32 s2, s6, s2
	v_mad_u64_u32 v[2:3], s[0:1], v0, s2, 0
	v_mul_hi_u32 v4, v0, s3
	v_add_co_u32_e32 v6, vcc, v4, v2
	v_addc_co_u32_e32 v7, vcc, 0, v3, vcc
	v_mad_u64_u32 v[2:3], s[0:1], v1, s3, 0
	v_mad_u64_u32 v[4:5], s[0:1], v1, s2, 0
	v_add_co_u32_e32 v2, vcc, v6, v2
	v_addc_co_u32_e32 v2, vcc, v7, v3, vcc
	v_addc_co_u32_e32 v3, vcc, 0, v5, vcc
	v_add_co_u32_e32 v2, vcc, v2, v4
	v_addc_co_u32_e32 v3, vcc, 0, v3, vcc
	v_mul_lo_u32 v4, s11, v2
	v_mul_lo_u32 v5, s10, v3
	v_mad_u64_u32 v[2:3], s[0:1], s10, v2, 0
	v_add3_u32 v3, v3, v5, v4
	v_sub_u32_e32 v4, v1, v3
	v_mov_b32_e32 v5, s11
	v_sub_co_u32_e32 v0, vcc, v0, v2
	v_subb_co_u32_e64 v2, s[0:1], v4, v5, vcc
	v_subrev_co_u32_e64 v4, s[0:1], s10, v0
	v_subbrev_co_u32_e64 v6, s[2:3], 0, v2, s[0:1]
	v_cmp_le_u32_e64 s[2:3], s11, v6
	v_cndmask_b32_e64 v7, 0, -1, s[2:3]
	v_cmp_le_u32_e64 s[2:3], s10, v4
	v_subb_co_u32_e64 v2, s[0:1], v2, v5, s[0:1]
	v_cndmask_b32_e64 v8, 0, -1, s[2:3]
	v_cmp_eq_u32_e64 s[2:3], s11, v6
	v_subrev_co_u32_e64 v5, s[0:1], s10, v4
	v_subb_co_u32_e32 v1, vcc, v1, v3, vcc
	v_cndmask_b32_e64 v7, v7, v8, s[2:3]
	v_subbrev_co_u32_e64 v2, s[0:1], 0, v2, s[0:1]
	v_cmp_le_u32_e32 vcc, s11, v1
	v_cmp_ne_u32_e64 s[0:1], 0, v7
	v_cndmask_b32_e64 v3, 0, -1, vcc
	v_cmp_le_u32_e32 vcc, s10, v0
	v_cndmask_b32_e64 v2, v6, v2, s[0:1]
	v_cndmask_b32_e64 v6, 0, -1, vcc
	v_cmp_eq_u32_e32 vcc, s11, v1
	v_cndmask_b32_e32 v3, v3, v6, vcc
	v_cmp_ne_u32_e32 vcc, 0, v3
	v_cndmask_b32_e32 v3, v1, v2, vcc
	v_cndmask_b32_e64 v1, v4, v5, s[0:1]
	v_cndmask_b32_e32 v2, v0, v1, vcc
                                        ; implicit-def: $vgpr0_vgpr1
.LBB18_3:
	s_andn2_saveexec_b64 s[0:1], s[12:13]
	s_cbranch_execz .LBB18_5
; %bb.4:
	v_cvt_f32_u32_e32 v1, s10
	s_sub_i32 s2, 0, s10
	v_mov_b32_e32 v3, 0
	v_rcp_iflag_f32_e32 v1, v1
	v_mul_f32_e32 v1, 0x4f7ffffe, v1
	v_cvt_u32_f32_e32 v1, v1
	v_mul_lo_u32 v2, s2, v1
	v_mul_hi_u32 v2, v1, v2
	v_add_u32_e32 v1, v1, v2
	v_mul_hi_u32 v1, v0, v1
	v_mul_lo_u32 v1, v1, s10
	v_sub_u32_e32 v0, v0, v1
	v_subrev_u32_e32 v1, s10, v0
	v_cmp_le_u32_e32 vcc, s10, v0
	v_cndmask_b32_e32 v0, v0, v1, vcc
	v_subrev_u32_e32 v1, s10, v0
	v_cmp_le_u32_e32 vcc, s10, v0
	v_cndmask_b32_e32 v2, v0, v1, vcc
.LBB18_5:
	s_or_b64 exec, exec, s[0:1]
	s_load_dwordx4 s[0:3], s[4:5], 0x70
	s_load_dwordx8 s[12:19], s[4:5], 0x18
	s_load_dwordx2 s[10:11], s[4:5], 0x68
	s_waitcnt lgkmcnt(0)
	s_add_i32 s9, s1, s7
	s_sub_i32 s1, 0, s0
	s_max_i32 s6, s0, 0
	v_max_i32_e32 v0, s0, v2
	s_add_i32 s0, s0, s12
	s_add_i32 s8, s2, s8
	s_max_i32 s1, s1, 0
	s_load_dwordx2 s[2:3], s[4:5], 0x0
	s_add_i32 s0, s0, -1
	v_min_i32_e32 v0, s0, v0
	s_sub_i32 s0, s1, s6
	v_add_u32_e32 v0, s0, v0
	s_mul_i32 s0, s15, s8
	s_mul_hi_u32 s1, s14, s8
	s_add_i32 s1, s1, s0
	s_mul_i32 s0, s14, s8
	s_lshl_b64 s[0:1], s[0:1], 2
	s_waitcnt lgkmcnt(0)
	s_add_u32 s6, s2, s0
	v_ashrrev_i32_e32 v1, 31, v0
	s_addc_u32 s7, s3, s1
	v_mul_lo_u32 v4, s18, v1
	v_mul_lo_u32 v5, s19, v0
	v_mad_u64_u32 v[0:1], s[2:3], s18, v0, 0
	s_mul_i32 s0, s17, s9
	s_mul_hi_u32 s1, s16, s9
	s_add_i32 s1, s1, s0
	s_mul_i32 s0, s16, s9
	s_lshl_b64 s[0:1], s[0:1], 2
	v_add3_u32 v1, v1, v4, v5
	s_add_u32 s0, s6, s0
	v_lshlrev_b64 v[0:1], 2, v[0:1]
	s_addc_u32 s1, s7, s1
	v_mov_b32_e32 v4, s1
	v_add_co_u32_e32 v0, vcc, s0, v0
	v_addc_co_u32_e32 v1, vcc, v4, v1, vcc
	global_load_dword v4, v[0:1], off
	s_load_dwordx4 s[0:3], s[4:5], 0x58
	s_load_dwordx2 s[6:7], s[4:5], 0x38
	v_mul_lo_u32 v5, s11, v2
	v_mul_lo_u32 v3, s10, v3
	s_waitcnt lgkmcnt(0)
	s_mul_i32 s1, s1, s8
	s_mul_hi_u32 s4, s0, s8
	s_add_i32 s1, s4, s1
	s_mul_i32 s0, s0, s8
	s_lshl_b64 s[0:1], s[0:1], 2
	s_add_u32 s4, s6, s0
	s_addc_u32 s5, s7, s1
	s_mul_i32 s0, s3, s9
	s_mul_hi_u32 s1, s2, s9
	s_add_i32 s1, s1, s0
	s_mul_i32 s0, s2, s9
	v_mad_u64_u32 v[0:1], s[2:3], s10, v2, 0
	s_lshl_b64 s[0:1], s[0:1], 2
	s_add_u32 s0, s4, s0
	v_add3_u32 v1, v1, v3, v5
	v_lshlrev_b64 v[0:1], 2, v[0:1]
	s_addc_u32 s1, s5, s1
	v_mov_b32_e32 v2, s1
	v_add_co_u32_e32 v0, vcc, s0, v0
	v_addc_co_u32_e32 v1, vcc, v2, v1, vcc
	s_waitcnt vmcnt(0)
	global_store_dword v[0:1], v4, off
.LBB18_6:
	s_endpgm
	.section	.rodata,"a",@progbits
	.p2align	6, 0x0
	.amdhsa_kernel _ZN2at6native12_GLOBAL__N_132replication_pad_forward_kernel1dIfEEvN5torch10headeronly6detail27GenericPackedTensorAccessorINS5_14TensorAccessorIN3c108ArrayRefIlEEKT_Lm2ENS4_16DefaultPtrTraitsElEENS_6detail16IndexBoundsCheckILm3ElEESC_Lm3ESD_lEENS6_INS7_ISA_SB_Lm2ESD_lEESH_SB_Lm3ESD_lEEiii
		.amdhsa_group_segment_fixed_size 0
		.amdhsa_private_segment_fixed_size 0
		.amdhsa_kernarg_size 384
		.amdhsa_user_sgpr_count 6
		.amdhsa_user_sgpr_private_segment_buffer 1
		.amdhsa_user_sgpr_dispatch_ptr 0
		.amdhsa_user_sgpr_queue_ptr 0
		.amdhsa_user_sgpr_kernarg_segment_ptr 1
		.amdhsa_user_sgpr_dispatch_id 0
		.amdhsa_user_sgpr_flat_scratch_init 0
		.amdhsa_user_sgpr_private_segment_size 0
		.amdhsa_uses_dynamic_stack 0
		.amdhsa_system_sgpr_private_segment_wavefront_offset 0
		.amdhsa_system_sgpr_workgroup_id_x 1
		.amdhsa_system_sgpr_workgroup_id_y 1
		.amdhsa_system_sgpr_workgroup_id_z 1
		.amdhsa_system_sgpr_workgroup_info 0
		.amdhsa_system_vgpr_workitem_id 0
		.amdhsa_next_free_vgpr 9
		.amdhsa_next_free_sgpr 20
		.amdhsa_reserve_vcc 1
		.amdhsa_reserve_flat_scratch 0
		.amdhsa_float_round_mode_32 0
		.amdhsa_float_round_mode_16_64 0
		.amdhsa_float_denorm_mode_32 3
		.amdhsa_float_denorm_mode_16_64 3
		.amdhsa_dx10_clamp 1
		.amdhsa_ieee_mode 1
		.amdhsa_fp16_overflow 0
		.amdhsa_exception_fp_ieee_invalid_op 0
		.amdhsa_exception_fp_denorm_src 0
		.amdhsa_exception_fp_ieee_div_zero 0
		.amdhsa_exception_fp_ieee_overflow 0
		.amdhsa_exception_fp_ieee_underflow 0
		.amdhsa_exception_fp_ieee_inexact 0
		.amdhsa_exception_int_div_zero 0
	.end_amdhsa_kernel
	.section	.text._ZN2at6native12_GLOBAL__N_132replication_pad_forward_kernel1dIfEEvN5torch10headeronly6detail27GenericPackedTensorAccessorINS5_14TensorAccessorIN3c108ArrayRefIlEEKT_Lm2ENS4_16DefaultPtrTraitsElEENS_6detail16IndexBoundsCheckILm3ElEESC_Lm3ESD_lEENS6_INS7_ISA_SB_Lm2ESD_lEESH_SB_Lm3ESD_lEEiii,"axG",@progbits,_ZN2at6native12_GLOBAL__N_132replication_pad_forward_kernel1dIfEEvN5torch10headeronly6detail27GenericPackedTensorAccessorINS5_14TensorAccessorIN3c108ArrayRefIlEEKT_Lm2ENS4_16DefaultPtrTraitsElEENS_6detail16IndexBoundsCheckILm3ElEESC_Lm3ESD_lEENS6_INS7_ISA_SB_Lm2ESD_lEESH_SB_Lm3ESD_lEEiii,comdat
.Lfunc_end18:
	.size	_ZN2at6native12_GLOBAL__N_132replication_pad_forward_kernel1dIfEEvN5torch10headeronly6detail27GenericPackedTensorAccessorINS5_14TensorAccessorIN3c108ArrayRefIlEEKT_Lm2ENS4_16DefaultPtrTraitsElEENS_6detail16IndexBoundsCheckILm3ElEESC_Lm3ESD_lEENS6_INS7_ISA_SB_Lm2ESD_lEESH_SB_Lm3ESD_lEEiii, .Lfunc_end18-_ZN2at6native12_GLOBAL__N_132replication_pad_forward_kernel1dIfEEvN5torch10headeronly6detail27GenericPackedTensorAccessorINS5_14TensorAccessorIN3c108ArrayRefIlEEKT_Lm2ENS4_16DefaultPtrTraitsElEENS_6detail16IndexBoundsCheckILm3ElEESC_Lm3ESD_lEENS6_INS7_ISA_SB_Lm2ESD_lEESH_SB_Lm3ESD_lEEiii
                                        ; -- End function
	.set _ZN2at6native12_GLOBAL__N_132replication_pad_forward_kernel1dIfEEvN5torch10headeronly6detail27GenericPackedTensorAccessorINS5_14TensorAccessorIN3c108ArrayRefIlEEKT_Lm2ENS4_16DefaultPtrTraitsElEENS_6detail16IndexBoundsCheckILm3ElEESC_Lm3ESD_lEENS6_INS7_ISA_SB_Lm2ESD_lEESH_SB_Lm3ESD_lEEiii.num_vgpr, 9
	.set _ZN2at6native12_GLOBAL__N_132replication_pad_forward_kernel1dIfEEvN5torch10headeronly6detail27GenericPackedTensorAccessorINS5_14TensorAccessorIN3c108ArrayRefIlEEKT_Lm2ENS4_16DefaultPtrTraitsElEENS_6detail16IndexBoundsCheckILm3ElEESC_Lm3ESD_lEENS6_INS7_ISA_SB_Lm2ESD_lEESH_SB_Lm3ESD_lEEiii.num_agpr, 0
	.set _ZN2at6native12_GLOBAL__N_132replication_pad_forward_kernel1dIfEEvN5torch10headeronly6detail27GenericPackedTensorAccessorINS5_14TensorAccessorIN3c108ArrayRefIlEEKT_Lm2ENS4_16DefaultPtrTraitsElEENS_6detail16IndexBoundsCheckILm3ElEESC_Lm3ESD_lEENS6_INS7_ISA_SB_Lm2ESD_lEESH_SB_Lm3ESD_lEEiii.numbered_sgpr, 20
	.set _ZN2at6native12_GLOBAL__N_132replication_pad_forward_kernel1dIfEEvN5torch10headeronly6detail27GenericPackedTensorAccessorINS5_14TensorAccessorIN3c108ArrayRefIlEEKT_Lm2ENS4_16DefaultPtrTraitsElEENS_6detail16IndexBoundsCheckILm3ElEESC_Lm3ESD_lEENS6_INS7_ISA_SB_Lm2ESD_lEESH_SB_Lm3ESD_lEEiii.num_named_barrier, 0
	.set _ZN2at6native12_GLOBAL__N_132replication_pad_forward_kernel1dIfEEvN5torch10headeronly6detail27GenericPackedTensorAccessorINS5_14TensorAccessorIN3c108ArrayRefIlEEKT_Lm2ENS4_16DefaultPtrTraitsElEENS_6detail16IndexBoundsCheckILm3ElEESC_Lm3ESD_lEENS6_INS7_ISA_SB_Lm2ESD_lEESH_SB_Lm3ESD_lEEiii.private_seg_size, 0
	.set _ZN2at6native12_GLOBAL__N_132replication_pad_forward_kernel1dIfEEvN5torch10headeronly6detail27GenericPackedTensorAccessorINS5_14TensorAccessorIN3c108ArrayRefIlEEKT_Lm2ENS4_16DefaultPtrTraitsElEENS_6detail16IndexBoundsCheckILm3ElEESC_Lm3ESD_lEENS6_INS7_ISA_SB_Lm2ESD_lEESH_SB_Lm3ESD_lEEiii.uses_vcc, 1
	.set _ZN2at6native12_GLOBAL__N_132replication_pad_forward_kernel1dIfEEvN5torch10headeronly6detail27GenericPackedTensorAccessorINS5_14TensorAccessorIN3c108ArrayRefIlEEKT_Lm2ENS4_16DefaultPtrTraitsElEENS_6detail16IndexBoundsCheckILm3ElEESC_Lm3ESD_lEENS6_INS7_ISA_SB_Lm2ESD_lEESH_SB_Lm3ESD_lEEiii.uses_flat_scratch, 0
	.set _ZN2at6native12_GLOBAL__N_132replication_pad_forward_kernel1dIfEEvN5torch10headeronly6detail27GenericPackedTensorAccessorINS5_14TensorAccessorIN3c108ArrayRefIlEEKT_Lm2ENS4_16DefaultPtrTraitsElEENS_6detail16IndexBoundsCheckILm3ElEESC_Lm3ESD_lEENS6_INS7_ISA_SB_Lm2ESD_lEESH_SB_Lm3ESD_lEEiii.has_dyn_sized_stack, 0
	.set _ZN2at6native12_GLOBAL__N_132replication_pad_forward_kernel1dIfEEvN5torch10headeronly6detail27GenericPackedTensorAccessorINS5_14TensorAccessorIN3c108ArrayRefIlEEKT_Lm2ENS4_16DefaultPtrTraitsElEENS_6detail16IndexBoundsCheckILm3ElEESC_Lm3ESD_lEENS6_INS7_ISA_SB_Lm2ESD_lEESH_SB_Lm3ESD_lEEiii.has_recursion, 0
	.set _ZN2at6native12_GLOBAL__N_132replication_pad_forward_kernel1dIfEEvN5torch10headeronly6detail27GenericPackedTensorAccessorINS5_14TensorAccessorIN3c108ArrayRefIlEEKT_Lm2ENS4_16DefaultPtrTraitsElEENS_6detail16IndexBoundsCheckILm3ElEESC_Lm3ESD_lEENS6_INS7_ISA_SB_Lm2ESD_lEESH_SB_Lm3ESD_lEEiii.has_indirect_call, 0
	.section	.AMDGPU.csdata,"",@progbits
; Kernel info:
; codeLenInByte = 1076
; TotalNumSgprs: 24
; NumVgprs: 9
; ScratchSize: 0
; MemoryBound: 0
; FloatMode: 240
; IeeeMode: 1
; LDSByteSize: 0 bytes/workgroup (compile time only)
; SGPRBlocks: 2
; VGPRBlocks: 2
; NumSGPRsForWavesPerEU: 24
; NumVGPRsForWavesPerEU: 9
; Occupancy: 10
; WaveLimiterHint : 1
; COMPUTE_PGM_RSRC2:SCRATCH_EN: 0
; COMPUTE_PGM_RSRC2:USER_SGPR: 6
; COMPUTE_PGM_RSRC2:TRAP_HANDLER: 0
; COMPUTE_PGM_RSRC2:TGID_X_EN: 1
; COMPUTE_PGM_RSRC2:TGID_Y_EN: 1
; COMPUTE_PGM_RSRC2:TGID_Z_EN: 1
; COMPUTE_PGM_RSRC2:TIDIG_COMP_CNT: 0
	.section	.text._ZN2at6native12_GLOBAL__N_132replication_pad_forward_kernel1dIN3c107complexIdEEEEvN5torch10headeronly6detail27GenericPackedTensorAccessorINS8_14TensorAccessorINS3_8ArrayRefIlEEKT_Lm2ENS7_16DefaultPtrTraitsElEENS_6detail16IndexBoundsCheckILm3ElEESE_Lm3ESF_lEENS9_INSA_ISC_SD_Lm2ESF_lEESJ_SD_Lm3ESF_lEEiii,"axG",@progbits,_ZN2at6native12_GLOBAL__N_132replication_pad_forward_kernel1dIN3c107complexIdEEEEvN5torch10headeronly6detail27GenericPackedTensorAccessorINS8_14TensorAccessorINS3_8ArrayRefIlEEKT_Lm2ENS7_16DefaultPtrTraitsElEENS_6detail16IndexBoundsCheckILm3ElEESE_Lm3ESF_lEENS9_INSA_ISC_SD_Lm2ESF_lEESJ_SD_Lm3ESF_lEEiii,comdat
	.globl	_ZN2at6native12_GLOBAL__N_132replication_pad_forward_kernel1dIN3c107complexIdEEEEvN5torch10headeronly6detail27GenericPackedTensorAccessorINS8_14TensorAccessorINS3_8ArrayRefIlEEKT_Lm2ENS7_16DefaultPtrTraitsElEENS_6detail16IndexBoundsCheckILm3ElEESE_Lm3ESF_lEENS9_INSA_ISC_SD_Lm2ESF_lEESJ_SD_Lm3ESF_lEEiii ; -- Begin function _ZN2at6native12_GLOBAL__N_132replication_pad_forward_kernel1dIN3c107complexIdEEEEvN5torch10headeronly6detail27GenericPackedTensorAccessorINS8_14TensorAccessorINS3_8ArrayRefIlEEKT_Lm2ENS7_16DefaultPtrTraitsElEENS_6detail16IndexBoundsCheckILm3ElEESE_Lm3ESF_lEENS9_INSA_ISC_SD_Lm2ESF_lEESJ_SD_Lm3ESF_lEEiii
	.p2align	8
	.type	_ZN2at6native12_GLOBAL__N_132replication_pad_forward_kernel1dIN3c107complexIdEEEEvN5torch10headeronly6detail27GenericPackedTensorAccessorINS8_14TensorAccessorINS3_8ArrayRefIlEEKT_Lm2ENS7_16DefaultPtrTraitsElEENS_6detail16IndexBoundsCheckILm3ElEESE_Lm3ESF_lEENS9_INSA_ISC_SD_Lm2ESF_lEESJ_SD_Lm3ESF_lEEiii,@function
_ZN2at6native12_GLOBAL__N_132replication_pad_forward_kernel1dIN3c107complexIdEEEEvN5torch10headeronly6detail27GenericPackedTensorAccessorINS8_14TensorAccessorINS3_8ArrayRefIlEEKT_Lm2ENS7_16DefaultPtrTraitsElEENS_6detail16IndexBoundsCheckILm3ElEESE_Lm3ESF_lEENS9_INSA_ISC_SD_Lm2ESF_lEESJ_SD_Lm3ESF_lEEiii: ; @_ZN2at6native12_GLOBAL__N_132replication_pad_forward_kernel1dIN3c107complexIdEEEEvN5torch10headeronly6detail27GenericPackedTensorAccessorINS8_14TensorAccessorINS3_8ArrayRefIlEEKT_Lm2ENS7_16DefaultPtrTraitsElEENS_6detail16IndexBoundsCheckILm3ElEESE_Lm3ESF_lEENS9_INSA_ISC_SD_Lm2ESF_lEESJ_SD_Lm3ESF_lEEiii
; %bb.0:
	s_load_dword s0, s[4:5], 0x8c
	s_load_dwordx2 s[10:11], s[4:5], 0x50
	v_mov_b32_e32 v4, 0
	v_mov_b32_e32 v1, v4
	;; [unrolled: 1-line block ×3, first 2 shown]
	s_waitcnt lgkmcnt(0)
	s_and_b32 s0, s0, 0xffff
	v_mad_u64_u32 v[2:3], s[0:1], s0, v2, v[0:1]
	v_cmp_gt_i64_e32 vcc, s[10:11], v[2:3]
	s_and_saveexec_b64 s[0:1], vcc
	s_cbranch_execz .LBB19_6
; %bb.1:
	v_or_b32_e32 v5, s11, v3
	v_cmp_ne_u64_e32 vcc, 0, v[4:5]
                                        ; implicit-def: $vgpr0_vgpr1
	s_and_saveexec_b64 s[0:1], vcc
	s_xor_b64 s[12:13], exec, s[0:1]
	s_cbranch_execz .LBB19_3
; %bb.2:
	v_cvt_f32_u32_e32 v0, s10
	v_cvt_f32_u32_e32 v1, s11
	s_sub_u32 s2, 0, s10
	s_subb_u32 s3, 0, s11
	v_madmk_f32 v0, v1, 0x4f800000, v0
	v_rcp_f32_e32 v0, v0
	v_mul_f32_e32 v0, 0x5f7ffffc, v0
	v_mul_f32_e32 v1, 0x2f800000, v0
	v_trunc_f32_e32 v1, v1
	v_madmk_f32 v0, v1, 0xcf800000, v0
	v_cvt_u32_f32_e32 v1, v1
	v_cvt_u32_f32_e32 v0, v0
	v_readfirstlane_b32 s6, v1
	v_readfirstlane_b32 s0, v0
	s_mul_i32 s1, s2, s6
	s_mul_hi_u32 s14, s2, s0
	s_mul_i32 s9, s3, s0
	s_add_i32 s1, s14, s1
	s_mul_i32 s15, s2, s0
	s_add_i32 s1, s1, s9
	s_mul_i32 s14, s0, s1
	s_mul_hi_u32 s16, s0, s15
	s_mul_hi_u32 s9, s0, s1
	s_add_u32 s14, s16, s14
	s_addc_u32 s9, 0, s9
	s_mul_hi_u32 s17, s6, s15
	s_mul_i32 s15, s6, s15
	s_add_u32 s14, s14, s15
	s_mul_hi_u32 s16, s6, s1
	s_addc_u32 s9, s9, s17
	s_addc_u32 s14, s16, 0
	s_mul_i32 s1, s6, s1
	s_add_u32 s1, s9, s1
	s_addc_u32 s9, 0, s14
	s_add_u32 s14, s0, s1
	s_cselect_b64 s[0:1], -1, 0
	s_cmp_lg_u64 s[0:1], 0
	s_addc_u32 s6, s6, s9
	s_mul_i32 s0, s2, s6
	s_mul_hi_u32 s1, s2, s14
	s_add_i32 s0, s1, s0
	s_mul_i32 s3, s3, s14
	s_add_i32 s0, s0, s3
	s_mul_i32 s2, s2, s14
	s_mul_hi_u32 s3, s6, s2
	s_mul_i32 s9, s6, s2
	s_mul_i32 s16, s14, s0
	s_mul_hi_u32 s2, s14, s2
	s_mul_hi_u32 s15, s14, s0
	s_add_u32 s2, s2, s16
	s_addc_u32 s15, 0, s15
	s_add_u32 s2, s2, s9
	s_mul_hi_u32 s1, s6, s0
	s_addc_u32 s2, s15, s3
	s_addc_u32 s1, s1, 0
	s_mul_i32 s0, s6, s0
	s_add_u32 s0, s2, s0
	s_addc_u32 s2, 0, s1
	s_add_u32 s3, s14, s0
	s_cselect_b64 s[0:1], -1, 0
	s_cmp_lg_u64 s[0:1], 0
	s_addc_u32 s2, s6, s2
	v_mad_u64_u32 v[0:1], s[0:1], v2, s2, 0
	v_mul_hi_u32 v4, v2, s3
	v_add_co_u32_e32 v6, vcc, v4, v0
	v_addc_co_u32_e32 v7, vcc, 0, v1, vcc
	v_mad_u64_u32 v[0:1], s[0:1], v3, s3, 0
	v_mad_u64_u32 v[4:5], s[0:1], v3, s2, 0
	v_add_co_u32_e32 v0, vcc, v6, v0
	v_addc_co_u32_e32 v0, vcc, v7, v1, vcc
	v_addc_co_u32_e32 v1, vcc, 0, v5, vcc
	v_add_co_u32_e32 v0, vcc, v0, v4
	v_addc_co_u32_e32 v1, vcc, 0, v1, vcc
	v_mul_lo_u32 v4, s11, v0
	v_mul_lo_u32 v5, s10, v1
	v_mad_u64_u32 v[0:1], s[0:1], s10, v0, 0
	v_add3_u32 v1, v1, v5, v4
	v_sub_u32_e32 v4, v3, v1
	v_mov_b32_e32 v5, s11
	v_sub_co_u32_e32 v0, vcc, v2, v0
	v_subb_co_u32_e64 v2, s[0:1], v4, v5, vcc
	v_subrev_co_u32_e64 v4, s[0:1], s10, v0
	v_subbrev_co_u32_e64 v6, s[2:3], 0, v2, s[0:1]
	v_cmp_le_u32_e64 s[2:3], s11, v6
	v_cndmask_b32_e64 v7, 0, -1, s[2:3]
	v_cmp_le_u32_e64 s[2:3], s10, v4
	v_subb_co_u32_e64 v2, s[0:1], v2, v5, s[0:1]
	v_cndmask_b32_e64 v8, 0, -1, s[2:3]
	v_cmp_eq_u32_e64 s[2:3], s11, v6
	v_subrev_co_u32_e64 v5, s[0:1], s10, v4
	v_subb_co_u32_e32 v1, vcc, v3, v1, vcc
	v_cndmask_b32_e64 v7, v7, v8, s[2:3]
	v_subbrev_co_u32_e64 v2, s[0:1], 0, v2, s[0:1]
	v_cmp_le_u32_e32 vcc, s11, v1
	v_cmp_ne_u32_e64 s[0:1], 0, v7
	v_cndmask_b32_e64 v3, 0, -1, vcc
	v_cmp_le_u32_e32 vcc, s10, v0
	v_cndmask_b32_e64 v2, v6, v2, s[0:1]
	v_cndmask_b32_e64 v6, 0, -1, vcc
	v_cmp_eq_u32_e32 vcc, s11, v1
	v_cndmask_b32_e32 v3, v3, v6, vcc
	v_cmp_ne_u32_e32 vcc, 0, v3
	v_cndmask_b32_e32 v1, v1, v2, vcc
	v_cndmask_b32_e64 v2, v4, v5, s[0:1]
	v_cndmask_b32_e32 v0, v0, v2, vcc
                                        ; implicit-def: $vgpr2_vgpr3
.LBB19_3:
	s_andn2_saveexec_b64 s[0:1], s[12:13]
	s_cbranch_execz .LBB19_5
; %bb.4:
	v_cvt_f32_u32_e32 v0, s10
	s_sub_i32 s2, 0, s10
	v_rcp_iflag_f32_e32 v0, v0
	v_mul_f32_e32 v0, 0x4f7ffffe, v0
	v_cvt_u32_f32_e32 v0, v0
	v_mul_lo_u32 v1, s2, v0
	v_mul_hi_u32 v1, v0, v1
	v_add_u32_e32 v0, v0, v1
	v_mul_hi_u32 v0, v2, v0
	v_mul_lo_u32 v0, v0, s10
	v_sub_u32_e32 v0, v2, v0
	v_subrev_u32_e32 v1, s10, v0
	v_cmp_le_u32_e32 vcc, s10, v0
	v_cndmask_b32_e32 v0, v0, v1, vcc
	v_subrev_u32_e32 v1, s10, v0
	v_cmp_le_u32_e32 vcc, s10, v0
	v_cndmask_b32_e32 v0, v0, v1, vcc
	v_mov_b32_e32 v1, 0
.LBB19_5:
	s_or_b64 exec, exec, s[0:1]
	s_load_dwordx4 s[0:3], s[4:5], 0x70
	s_load_dwordx8 s[12:19], s[4:5], 0x18
	s_load_dwordx2 s[10:11], s[4:5], 0x68
	s_waitcnt lgkmcnt(0)
	s_add_i32 s9, s1, s7
	s_sub_i32 s1, 0, s0
	s_max_i32 s6, s0, 0
	v_max_i32_e32 v2, s0, v0
	s_add_i32 s0, s0, s12
	s_add_i32 s8, s2, s8
	s_max_i32 s1, s1, 0
	s_load_dwordx2 s[2:3], s[4:5], 0x0
	s_add_i32 s0, s0, -1
	v_min_i32_e32 v2, s0, v2
	s_sub_i32 s0, s1, s6
	v_add_u32_e32 v2, s0, v2
	s_mul_i32 s0, s15, s8
	s_mul_hi_u32 s1, s14, s8
	s_add_i32 s1, s1, s0
	s_mul_i32 s0, s14, s8
	s_lshl_b64 s[0:1], s[0:1], 4
	s_waitcnt lgkmcnt(0)
	s_add_u32 s6, s2, s0
	v_ashrrev_i32_e32 v3, 31, v2
	s_addc_u32 s7, s3, s1
	v_mul_lo_u32 v4, s18, v3
	v_mul_lo_u32 v5, s19, v2
	v_mad_u64_u32 v[2:3], s[2:3], s18, v2, 0
	s_mul_i32 s0, s17, s9
	s_mul_hi_u32 s1, s16, s9
	s_add_i32 s1, s1, s0
	s_mul_i32 s0, s16, s9
	s_lshl_b64 s[0:1], s[0:1], 4
	v_add3_u32 v3, v3, v4, v5
	s_add_u32 s0, s6, s0
	v_lshlrev_b64 v[2:3], 4, v[2:3]
	s_addc_u32 s1, s7, s1
	v_mov_b32_e32 v4, s1
	v_add_co_u32_e32 v2, vcc, s0, v2
	v_addc_co_u32_e32 v3, vcc, v4, v3, vcc
	global_load_dwordx4 v[2:5], v[2:3], off
	s_load_dwordx4 s[0:3], s[4:5], 0x58
	s_load_dwordx2 s[6:7], s[4:5], 0x38
	v_mul_lo_u32 v6, s11, v0
	v_mul_lo_u32 v7, s10, v1
	s_waitcnt lgkmcnt(0)
	s_mul_i32 s1, s1, s8
	s_mul_hi_u32 s4, s0, s8
	s_add_i32 s1, s4, s1
	s_mul_i32 s0, s0, s8
	s_lshl_b64 s[0:1], s[0:1], 4
	s_add_u32 s4, s6, s0
	s_addc_u32 s5, s7, s1
	s_mul_i32 s0, s3, s9
	s_mul_hi_u32 s1, s2, s9
	s_add_i32 s1, s1, s0
	s_mul_i32 s0, s2, s9
	v_mad_u64_u32 v[0:1], s[2:3], s10, v0, 0
	s_lshl_b64 s[0:1], s[0:1], 4
	s_add_u32 s0, s4, s0
	v_add3_u32 v1, v1, v7, v6
	v_lshlrev_b64 v[0:1], 4, v[0:1]
	s_addc_u32 s1, s5, s1
	v_mov_b32_e32 v6, s1
	v_add_co_u32_e32 v0, vcc, s0, v0
	v_addc_co_u32_e32 v1, vcc, v6, v1, vcc
	s_waitcnt vmcnt(0)
	global_store_dwordx4 v[0:1], v[2:5], off
.LBB19_6:
	s_endpgm
	.section	.rodata,"a",@progbits
	.p2align	6, 0x0
	.amdhsa_kernel _ZN2at6native12_GLOBAL__N_132replication_pad_forward_kernel1dIN3c107complexIdEEEEvN5torch10headeronly6detail27GenericPackedTensorAccessorINS8_14TensorAccessorINS3_8ArrayRefIlEEKT_Lm2ENS7_16DefaultPtrTraitsElEENS_6detail16IndexBoundsCheckILm3ElEESE_Lm3ESF_lEENS9_INSA_ISC_SD_Lm2ESF_lEESJ_SD_Lm3ESF_lEEiii
		.amdhsa_group_segment_fixed_size 0
		.amdhsa_private_segment_fixed_size 0
		.amdhsa_kernarg_size 384
		.amdhsa_user_sgpr_count 6
		.amdhsa_user_sgpr_private_segment_buffer 1
		.amdhsa_user_sgpr_dispatch_ptr 0
		.amdhsa_user_sgpr_queue_ptr 0
		.amdhsa_user_sgpr_kernarg_segment_ptr 1
		.amdhsa_user_sgpr_dispatch_id 0
		.amdhsa_user_sgpr_flat_scratch_init 0
		.amdhsa_user_sgpr_private_segment_size 0
		.amdhsa_uses_dynamic_stack 0
		.amdhsa_system_sgpr_private_segment_wavefront_offset 0
		.amdhsa_system_sgpr_workgroup_id_x 1
		.amdhsa_system_sgpr_workgroup_id_y 1
		.amdhsa_system_sgpr_workgroup_id_z 1
		.amdhsa_system_sgpr_workgroup_info 0
		.amdhsa_system_vgpr_workitem_id 0
		.amdhsa_next_free_vgpr 9
		.amdhsa_next_free_sgpr 20
		.amdhsa_reserve_vcc 1
		.amdhsa_reserve_flat_scratch 0
		.amdhsa_float_round_mode_32 0
		.amdhsa_float_round_mode_16_64 0
		.amdhsa_float_denorm_mode_32 3
		.amdhsa_float_denorm_mode_16_64 3
		.amdhsa_dx10_clamp 1
		.amdhsa_ieee_mode 1
		.amdhsa_fp16_overflow 0
		.amdhsa_exception_fp_ieee_invalid_op 0
		.amdhsa_exception_fp_denorm_src 0
		.amdhsa_exception_fp_ieee_div_zero 0
		.amdhsa_exception_fp_ieee_overflow 0
		.amdhsa_exception_fp_ieee_underflow 0
		.amdhsa_exception_fp_ieee_inexact 0
		.amdhsa_exception_int_div_zero 0
	.end_amdhsa_kernel
	.section	.text._ZN2at6native12_GLOBAL__N_132replication_pad_forward_kernel1dIN3c107complexIdEEEEvN5torch10headeronly6detail27GenericPackedTensorAccessorINS8_14TensorAccessorINS3_8ArrayRefIlEEKT_Lm2ENS7_16DefaultPtrTraitsElEENS_6detail16IndexBoundsCheckILm3ElEESE_Lm3ESF_lEENS9_INSA_ISC_SD_Lm2ESF_lEESJ_SD_Lm3ESF_lEEiii,"axG",@progbits,_ZN2at6native12_GLOBAL__N_132replication_pad_forward_kernel1dIN3c107complexIdEEEEvN5torch10headeronly6detail27GenericPackedTensorAccessorINS8_14TensorAccessorINS3_8ArrayRefIlEEKT_Lm2ENS7_16DefaultPtrTraitsElEENS_6detail16IndexBoundsCheckILm3ElEESE_Lm3ESF_lEENS9_INSA_ISC_SD_Lm2ESF_lEESJ_SD_Lm3ESF_lEEiii,comdat
.Lfunc_end19:
	.size	_ZN2at6native12_GLOBAL__N_132replication_pad_forward_kernel1dIN3c107complexIdEEEEvN5torch10headeronly6detail27GenericPackedTensorAccessorINS8_14TensorAccessorINS3_8ArrayRefIlEEKT_Lm2ENS7_16DefaultPtrTraitsElEENS_6detail16IndexBoundsCheckILm3ElEESE_Lm3ESF_lEENS9_INSA_ISC_SD_Lm2ESF_lEESJ_SD_Lm3ESF_lEEiii, .Lfunc_end19-_ZN2at6native12_GLOBAL__N_132replication_pad_forward_kernel1dIN3c107complexIdEEEEvN5torch10headeronly6detail27GenericPackedTensorAccessorINS8_14TensorAccessorINS3_8ArrayRefIlEEKT_Lm2ENS7_16DefaultPtrTraitsElEENS_6detail16IndexBoundsCheckILm3ElEESE_Lm3ESF_lEENS9_INSA_ISC_SD_Lm2ESF_lEESJ_SD_Lm3ESF_lEEiii
                                        ; -- End function
	.set _ZN2at6native12_GLOBAL__N_132replication_pad_forward_kernel1dIN3c107complexIdEEEEvN5torch10headeronly6detail27GenericPackedTensorAccessorINS8_14TensorAccessorINS3_8ArrayRefIlEEKT_Lm2ENS7_16DefaultPtrTraitsElEENS_6detail16IndexBoundsCheckILm3ElEESE_Lm3ESF_lEENS9_INSA_ISC_SD_Lm2ESF_lEESJ_SD_Lm3ESF_lEEiii.num_vgpr, 9
	.set _ZN2at6native12_GLOBAL__N_132replication_pad_forward_kernel1dIN3c107complexIdEEEEvN5torch10headeronly6detail27GenericPackedTensorAccessorINS8_14TensorAccessorINS3_8ArrayRefIlEEKT_Lm2ENS7_16DefaultPtrTraitsElEENS_6detail16IndexBoundsCheckILm3ElEESE_Lm3ESF_lEENS9_INSA_ISC_SD_Lm2ESF_lEESJ_SD_Lm3ESF_lEEiii.num_agpr, 0
	.set _ZN2at6native12_GLOBAL__N_132replication_pad_forward_kernel1dIN3c107complexIdEEEEvN5torch10headeronly6detail27GenericPackedTensorAccessorINS8_14TensorAccessorINS3_8ArrayRefIlEEKT_Lm2ENS7_16DefaultPtrTraitsElEENS_6detail16IndexBoundsCheckILm3ElEESE_Lm3ESF_lEENS9_INSA_ISC_SD_Lm2ESF_lEESJ_SD_Lm3ESF_lEEiii.numbered_sgpr, 20
	.set _ZN2at6native12_GLOBAL__N_132replication_pad_forward_kernel1dIN3c107complexIdEEEEvN5torch10headeronly6detail27GenericPackedTensorAccessorINS8_14TensorAccessorINS3_8ArrayRefIlEEKT_Lm2ENS7_16DefaultPtrTraitsElEENS_6detail16IndexBoundsCheckILm3ElEESE_Lm3ESF_lEENS9_INSA_ISC_SD_Lm2ESF_lEESJ_SD_Lm3ESF_lEEiii.num_named_barrier, 0
	.set _ZN2at6native12_GLOBAL__N_132replication_pad_forward_kernel1dIN3c107complexIdEEEEvN5torch10headeronly6detail27GenericPackedTensorAccessorINS8_14TensorAccessorINS3_8ArrayRefIlEEKT_Lm2ENS7_16DefaultPtrTraitsElEENS_6detail16IndexBoundsCheckILm3ElEESE_Lm3ESF_lEENS9_INSA_ISC_SD_Lm2ESF_lEESJ_SD_Lm3ESF_lEEiii.private_seg_size, 0
	.set _ZN2at6native12_GLOBAL__N_132replication_pad_forward_kernel1dIN3c107complexIdEEEEvN5torch10headeronly6detail27GenericPackedTensorAccessorINS8_14TensorAccessorINS3_8ArrayRefIlEEKT_Lm2ENS7_16DefaultPtrTraitsElEENS_6detail16IndexBoundsCheckILm3ElEESE_Lm3ESF_lEENS9_INSA_ISC_SD_Lm2ESF_lEESJ_SD_Lm3ESF_lEEiii.uses_vcc, 1
	.set _ZN2at6native12_GLOBAL__N_132replication_pad_forward_kernel1dIN3c107complexIdEEEEvN5torch10headeronly6detail27GenericPackedTensorAccessorINS8_14TensorAccessorINS3_8ArrayRefIlEEKT_Lm2ENS7_16DefaultPtrTraitsElEENS_6detail16IndexBoundsCheckILm3ElEESE_Lm3ESF_lEENS9_INSA_ISC_SD_Lm2ESF_lEESJ_SD_Lm3ESF_lEEiii.uses_flat_scratch, 0
	.set _ZN2at6native12_GLOBAL__N_132replication_pad_forward_kernel1dIN3c107complexIdEEEEvN5torch10headeronly6detail27GenericPackedTensorAccessorINS8_14TensorAccessorINS3_8ArrayRefIlEEKT_Lm2ENS7_16DefaultPtrTraitsElEENS_6detail16IndexBoundsCheckILm3ElEESE_Lm3ESF_lEENS9_INSA_ISC_SD_Lm2ESF_lEESJ_SD_Lm3ESF_lEEiii.has_dyn_sized_stack, 0
	.set _ZN2at6native12_GLOBAL__N_132replication_pad_forward_kernel1dIN3c107complexIdEEEEvN5torch10headeronly6detail27GenericPackedTensorAccessorINS8_14TensorAccessorINS3_8ArrayRefIlEEKT_Lm2ENS7_16DefaultPtrTraitsElEENS_6detail16IndexBoundsCheckILm3ElEESE_Lm3ESF_lEENS9_INSA_ISC_SD_Lm2ESF_lEESJ_SD_Lm3ESF_lEEiii.has_recursion, 0
	.set _ZN2at6native12_GLOBAL__N_132replication_pad_forward_kernel1dIN3c107complexIdEEEEvN5torch10headeronly6detail27GenericPackedTensorAccessorINS8_14TensorAccessorINS3_8ArrayRefIlEEKT_Lm2ENS7_16DefaultPtrTraitsElEENS_6detail16IndexBoundsCheckILm3ElEESE_Lm3ESF_lEENS9_INSA_ISC_SD_Lm2ESF_lEESJ_SD_Lm3ESF_lEEiii.has_indirect_call, 0
	.section	.AMDGPU.csdata,"",@progbits
; Kernel info:
; codeLenInByte = 1076
; TotalNumSgprs: 24
; NumVgprs: 9
; ScratchSize: 0
; MemoryBound: 0
; FloatMode: 240
; IeeeMode: 1
; LDSByteSize: 0 bytes/workgroup (compile time only)
; SGPRBlocks: 2
; VGPRBlocks: 2
; NumSGPRsForWavesPerEU: 24
; NumVGPRsForWavesPerEU: 9
; Occupancy: 10
; WaveLimiterHint : 1
; COMPUTE_PGM_RSRC2:SCRATCH_EN: 0
; COMPUTE_PGM_RSRC2:USER_SGPR: 6
; COMPUTE_PGM_RSRC2:TRAP_HANDLER: 0
; COMPUTE_PGM_RSRC2:TGID_X_EN: 1
; COMPUTE_PGM_RSRC2:TGID_Y_EN: 1
; COMPUTE_PGM_RSRC2:TGID_Z_EN: 1
; COMPUTE_PGM_RSRC2:TIDIG_COMP_CNT: 0
	.section	.text._ZN2at6native12_GLOBAL__N_132replication_pad_forward_kernel1dIN3c107complexIfEEEEvN5torch10headeronly6detail27GenericPackedTensorAccessorINS8_14TensorAccessorINS3_8ArrayRefIlEEKT_Lm2ENS7_16DefaultPtrTraitsElEENS_6detail16IndexBoundsCheckILm3ElEESE_Lm3ESF_lEENS9_INSA_ISC_SD_Lm2ESF_lEESJ_SD_Lm3ESF_lEEiii,"axG",@progbits,_ZN2at6native12_GLOBAL__N_132replication_pad_forward_kernel1dIN3c107complexIfEEEEvN5torch10headeronly6detail27GenericPackedTensorAccessorINS8_14TensorAccessorINS3_8ArrayRefIlEEKT_Lm2ENS7_16DefaultPtrTraitsElEENS_6detail16IndexBoundsCheckILm3ElEESE_Lm3ESF_lEENS9_INSA_ISC_SD_Lm2ESF_lEESJ_SD_Lm3ESF_lEEiii,comdat
	.globl	_ZN2at6native12_GLOBAL__N_132replication_pad_forward_kernel1dIN3c107complexIfEEEEvN5torch10headeronly6detail27GenericPackedTensorAccessorINS8_14TensorAccessorINS3_8ArrayRefIlEEKT_Lm2ENS7_16DefaultPtrTraitsElEENS_6detail16IndexBoundsCheckILm3ElEESE_Lm3ESF_lEENS9_INSA_ISC_SD_Lm2ESF_lEESJ_SD_Lm3ESF_lEEiii ; -- Begin function _ZN2at6native12_GLOBAL__N_132replication_pad_forward_kernel1dIN3c107complexIfEEEEvN5torch10headeronly6detail27GenericPackedTensorAccessorINS8_14TensorAccessorINS3_8ArrayRefIlEEKT_Lm2ENS7_16DefaultPtrTraitsElEENS_6detail16IndexBoundsCheckILm3ElEESE_Lm3ESF_lEENS9_INSA_ISC_SD_Lm2ESF_lEESJ_SD_Lm3ESF_lEEiii
	.p2align	8
	.type	_ZN2at6native12_GLOBAL__N_132replication_pad_forward_kernel1dIN3c107complexIfEEEEvN5torch10headeronly6detail27GenericPackedTensorAccessorINS8_14TensorAccessorINS3_8ArrayRefIlEEKT_Lm2ENS7_16DefaultPtrTraitsElEENS_6detail16IndexBoundsCheckILm3ElEESE_Lm3ESF_lEENS9_INSA_ISC_SD_Lm2ESF_lEESJ_SD_Lm3ESF_lEEiii,@function
_ZN2at6native12_GLOBAL__N_132replication_pad_forward_kernel1dIN3c107complexIfEEEEvN5torch10headeronly6detail27GenericPackedTensorAccessorINS8_14TensorAccessorINS3_8ArrayRefIlEEKT_Lm2ENS7_16DefaultPtrTraitsElEENS_6detail16IndexBoundsCheckILm3ElEESE_Lm3ESF_lEENS9_INSA_ISC_SD_Lm2ESF_lEESJ_SD_Lm3ESF_lEEiii: ; @_ZN2at6native12_GLOBAL__N_132replication_pad_forward_kernel1dIN3c107complexIfEEEEvN5torch10headeronly6detail27GenericPackedTensorAccessorINS8_14TensorAccessorINS3_8ArrayRefIlEEKT_Lm2ENS7_16DefaultPtrTraitsElEENS_6detail16IndexBoundsCheckILm3ElEESE_Lm3ESF_lEENS9_INSA_ISC_SD_Lm2ESF_lEESJ_SD_Lm3ESF_lEEiii
; %bb.0:
	s_load_dword s0, s[4:5], 0x8c
	s_load_dwordx2 s[10:11], s[4:5], 0x50
	v_mov_b32_e32 v2, 0
	v_mov_b32_e32 v1, v2
	;; [unrolled: 1-line block ×3, first 2 shown]
	s_waitcnt lgkmcnt(0)
	s_and_b32 s0, s0, 0xffff
	v_mad_u64_u32 v[0:1], s[0:1], s0, v3, v[0:1]
	v_cmp_gt_i64_e32 vcc, s[10:11], v[0:1]
	s_and_saveexec_b64 s[0:1], vcc
	s_cbranch_execz .LBB20_6
; %bb.1:
	v_or_b32_e32 v3, s11, v1
	v_cmp_ne_u64_e32 vcc, 0, v[2:3]
                                        ; implicit-def: $vgpr2_vgpr3
	s_and_saveexec_b64 s[0:1], vcc
	s_xor_b64 s[12:13], exec, s[0:1]
	s_cbranch_execz .LBB20_3
; %bb.2:
	v_cvt_f32_u32_e32 v2, s10
	v_cvt_f32_u32_e32 v3, s11
	s_sub_u32 s2, 0, s10
	s_subb_u32 s3, 0, s11
	v_madmk_f32 v2, v3, 0x4f800000, v2
	v_rcp_f32_e32 v2, v2
	v_mul_f32_e32 v2, 0x5f7ffffc, v2
	v_mul_f32_e32 v3, 0x2f800000, v2
	v_trunc_f32_e32 v3, v3
	v_madmk_f32 v2, v3, 0xcf800000, v2
	v_cvt_u32_f32_e32 v3, v3
	v_cvt_u32_f32_e32 v2, v2
	v_readfirstlane_b32 s6, v3
	v_readfirstlane_b32 s0, v2
	s_mul_i32 s1, s2, s6
	s_mul_hi_u32 s14, s2, s0
	s_mul_i32 s9, s3, s0
	s_add_i32 s1, s14, s1
	s_mul_i32 s15, s2, s0
	s_add_i32 s1, s1, s9
	s_mul_i32 s14, s0, s1
	s_mul_hi_u32 s16, s0, s15
	s_mul_hi_u32 s9, s0, s1
	s_add_u32 s14, s16, s14
	s_addc_u32 s9, 0, s9
	s_mul_hi_u32 s17, s6, s15
	s_mul_i32 s15, s6, s15
	s_add_u32 s14, s14, s15
	s_mul_hi_u32 s16, s6, s1
	s_addc_u32 s9, s9, s17
	s_addc_u32 s14, s16, 0
	s_mul_i32 s1, s6, s1
	s_add_u32 s1, s9, s1
	s_addc_u32 s9, 0, s14
	s_add_u32 s14, s0, s1
	s_cselect_b64 s[0:1], -1, 0
	s_cmp_lg_u64 s[0:1], 0
	s_addc_u32 s6, s6, s9
	s_mul_i32 s0, s2, s6
	s_mul_hi_u32 s1, s2, s14
	s_add_i32 s0, s1, s0
	s_mul_i32 s3, s3, s14
	s_add_i32 s0, s0, s3
	s_mul_i32 s2, s2, s14
	s_mul_hi_u32 s3, s6, s2
	s_mul_i32 s9, s6, s2
	s_mul_i32 s16, s14, s0
	s_mul_hi_u32 s2, s14, s2
	s_mul_hi_u32 s15, s14, s0
	s_add_u32 s2, s2, s16
	s_addc_u32 s15, 0, s15
	s_add_u32 s2, s2, s9
	s_mul_hi_u32 s1, s6, s0
	s_addc_u32 s2, s15, s3
	s_addc_u32 s1, s1, 0
	s_mul_i32 s0, s6, s0
	s_add_u32 s0, s2, s0
	s_addc_u32 s2, 0, s1
	s_add_u32 s3, s14, s0
	s_cselect_b64 s[0:1], -1, 0
	s_cmp_lg_u64 s[0:1], 0
	s_addc_u32 s2, s6, s2
	v_mad_u64_u32 v[2:3], s[0:1], v0, s2, 0
	v_mul_hi_u32 v4, v0, s3
	v_add_co_u32_e32 v6, vcc, v4, v2
	v_addc_co_u32_e32 v7, vcc, 0, v3, vcc
	v_mad_u64_u32 v[2:3], s[0:1], v1, s3, 0
	v_mad_u64_u32 v[4:5], s[0:1], v1, s2, 0
	v_add_co_u32_e32 v2, vcc, v6, v2
	v_addc_co_u32_e32 v2, vcc, v7, v3, vcc
	v_addc_co_u32_e32 v3, vcc, 0, v5, vcc
	v_add_co_u32_e32 v2, vcc, v2, v4
	v_addc_co_u32_e32 v3, vcc, 0, v3, vcc
	v_mul_lo_u32 v4, s11, v2
	v_mul_lo_u32 v5, s10, v3
	v_mad_u64_u32 v[2:3], s[0:1], s10, v2, 0
	v_add3_u32 v3, v3, v5, v4
	v_sub_u32_e32 v4, v1, v3
	v_mov_b32_e32 v5, s11
	v_sub_co_u32_e32 v0, vcc, v0, v2
	v_subb_co_u32_e64 v2, s[0:1], v4, v5, vcc
	v_subrev_co_u32_e64 v4, s[0:1], s10, v0
	v_subbrev_co_u32_e64 v6, s[2:3], 0, v2, s[0:1]
	v_cmp_le_u32_e64 s[2:3], s11, v6
	v_cndmask_b32_e64 v7, 0, -1, s[2:3]
	v_cmp_le_u32_e64 s[2:3], s10, v4
	v_subb_co_u32_e64 v2, s[0:1], v2, v5, s[0:1]
	v_cndmask_b32_e64 v8, 0, -1, s[2:3]
	v_cmp_eq_u32_e64 s[2:3], s11, v6
	v_subrev_co_u32_e64 v5, s[0:1], s10, v4
	v_subb_co_u32_e32 v1, vcc, v1, v3, vcc
	v_cndmask_b32_e64 v7, v7, v8, s[2:3]
	v_subbrev_co_u32_e64 v2, s[0:1], 0, v2, s[0:1]
	v_cmp_le_u32_e32 vcc, s11, v1
	v_cmp_ne_u32_e64 s[0:1], 0, v7
	v_cndmask_b32_e64 v3, 0, -1, vcc
	v_cmp_le_u32_e32 vcc, s10, v0
	v_cndmask_b32_e64 v2, v6, v2, s[0:1]
	v_cndmask_b32_e64 v6, 0, -1, vcc
	v_cmp_eq_u32_e32 vcc, s11, v1
	v_cndmask_b32_e32 v3, v3, v6, vcc
	v_cmp_ne_u32_e32 vcc, 0, v3
	v_cndmask_b32_e32 v3, v1, v2, vcc
	v_cndmask_b32_e64 v1, v4, v5, s[0:1]
	v_cndmask_b32_e32 v2, v0, v1, vcc
                                        ; implicit-def: $vgpr0_vgpr1
.LBB20_3:
	s_andn2_saveexec_b64 s[0:1], s[12:13]
	s_cbranch_execz .LBB20_5
; %bb.4:
	v_cvt_f32_u32_e32 v1, s10
	s_sub_i32 s2, 0, s10
	v_mov_b32_e32 v3, 0
	v_rcp_iflag_f32_e32 v1, v1
	v_mul_f32_e32 v1, 0x4f7ffffe, v1
	v_cvt_u32_f32_e32 v1, v1
	v_mul_lo_u32 v2, s2, v1
	v_mul_hi_u32 v2, v1, v2
	v_add_u32_e32 v1, v1, v2
	v_mul_hi_u32 v1, v0, v1
	v_mul_lo_u32 v1, v1, s10
	v_sub_u32_e32 v0, v0, v1
	v_subrev_u32_e32 v1, s10, v0
	v_cmp_le_u32_e32 vcc, s10, v0
	v_cndmask_b32_e32 v0, v0, v1, vcc
	v_subrev_u32_e32 v1, s10, v0
	v_cmp_le_u32_e32 vcc, s10, v0
	v_cndmask_b32_e32 v2, v0, v1, vcc
.LBB20_5:
	s_or_b64 exec, exec, s[0:1]
	s_load_dwordx4 s[0:3], s[4:5], 0x70
	s_load_dwordx8 s[12:19], s[4:5], 0x18
	s_load_dwordx2 s[10:11], s[4:5], 0x68
	s_waitcnt lgkmcnt(0)
	s_add_i32 s9, s1, s7
	s_sub_i32 s1, 0, s0
	s_max_i32 s6, s0, 0
	v_max_i32_e32 v0, s0, v2
	s_add_i32 s0, s0, s12
	s_add_i32 s8, s2, s8
	s_max_i32 s1, s1, 0
	s_load_dwordx2 s[2:3], s[4:5], 0x0
	s_add_i32 s0, s0, -1
	v_min_i32_e32 v0, s0, v0
	s_sub_i32 s0, s1, s6
	v_add_u32_e32 v0, s0, v0
	s_mul_i32 s0, s15, s8
	s_mul_hi_u32 s1, s14, s8
	s_add_i32 s1, s1, s0
	s_mul_i32 s0, s14, s8
	s_lshl_b64 s[0:1], s[0:1], 3
	s_waitcnt lgkmcnt(0)
	s_add_u32 s6, s2, s0
	v_ashrrev_i32_e32 v1, 31, v0
	s_addc_u32 s7, s3, s1
	v_mul_lo_u32 v4, s18, v1
	v_mul_lo_u32 v5, s19, v0
	v_mad_u64_u32 v[0:1], s[2:3], s18, v0, 0
	s_mul_i32 s0, s17, s9
	s_mul_hi_u32 s1, s16, s9
	s_add_i32 s1, s1, s0
	s_mul_i32 s0, s16, s9
	s_lshl_b64 s[0:1], s[0:1], 3
	v_add3_u32 v1, v1, v4, v5
	s_add_u32 s0, s6, s0
	v_lshlrev_b64 v[0:1], 3, v[0:1]
	s_addc_u32 s1, s7, s1
	v_mov_b32_e32 v4, s1
	v_add_co_u32_e32 v0, vcc, s0, v0
	v_addc_co_u32_e32 v1, vcc, v4, v1, vcc
	global_load_dwordx2 v[0:1], v[0:1], off
	s_load_dwordx4 s[0:3], s[4:5], 0x58
	s_load_dwordx2 s[6:7], s[4:5], 0x38
	v_mul_lo_u32 v4, s11, v2
	v_mul_lo_u32 v5, s10, v3
	s_waitcnt lgkmcnt(0)
	s_mul_i32 s1, s1, s8
	s_mul_hi_u32 s4, s0, s8
	s_add_i32 s1, s4, s1
	s_mul_i32 s0, s0, s8
	s_lshl_b64 s[0:1], s[0:1], 3
	s_add_u32 s4, s6, s0
	s_addc_u32 s5, s7, s1
	s_mul_i32 s0, s3, s9
	s_mul_hi_u32 s1, s2, s9
	s_add_i32 s1, s1, s0
	s_mul_i32 s0, s2, s9
	v_mad_u64_u32 v[2:3], s[2:3], s10, v2, 0
	s_lshl_b64 s[0:1], s[0:1], 3
	s_add_u32 s0, s4, s0
	v_add3_u32 v3, v3, v5, v4
	v_lshlrev_b64 v[2:3], 3, v[2:3]
	s_addc_u32 s1, s5, s1
	v_mov_b32_e32 v4, s1
	v_add_co_u32_e32 v2, vcc, s0, v2
	v_addc_co_u32_e32 v3, vcc, v4, v3, vcc
	s_waitcnt vmcnt(0)
	global_store_dwordx2 v[2:3], v[0:1], off
.LBB20_6:
	s_endpgm
	.section	.rodata,"a",@progbits
	.p2align	6, 0x0
	.amdhsa_kernel _ZN2at6native12_GLOBAL__N_132replication_pad_forward_kernel1dIN3c107complexIfEEEEvN5torch10headeronly6detail27GenericPackedTensorAccessorINS8_14TensorAccessorINS3_8ArrayRefIlEEKT_Lm2ENS7_16DefaultPtrTraitsElEENS_6detail16IndexBoundsCheckILm3ElEESE_Lm3ESF_lEENS9_INSA_ISC_SD_Lm2ESF_lEESJ_SD_Lm3ESF_lEEiii
		.amdhsa_group_segment_fixed_size 0
		.amdhsa_private_segment_fixed_size 0
		.amdhsa_kernarg_size 384
		.amdhsa_user_sgpr_count 6
		.amdhsa_user_sgpr_private_segment_buffer 1
		.amdhsa_user_sgpr_dispatch_ptr 0
		.amdhsa_user_sgpr_queue_ptr 0
		.amdhsa_user_sgpr_kernarg_segment_ptr 1
		.amdhsa_user_sgpr_dispatch_id 0
		.amdhsa_user_sgpr_flat_scratch_init 0
		.amdhsa_user_sgpr_private_segment_size 0
		.amdhsa_uses_dynamic_stack 0
		.amdhsa_system_sgpr_private_segment_wavefront_offset 0
		.amdhsa_system_sgpr_workgroup_id_x 1
		.amdhsa_system_sgpr_workgroup_id_y 1
		.amdhsa_system_sgpr_workgroup_id_z 1
		.amdhsa_system_sgpr_workgroup_info 0
		.amdhsa_system_vgpr_workitem_id 0
		.amdhsa_next_free_vgpr 9
		.amdhsa_next_free_sgpr 20
		.amdhsa_reserve_vcc 1
		.amdhsa_reserve_flat_scratch 0
		.amdhsa_float_round_mode_32 0
		.amdhsa_float_round_mode_16_64 0
		.amdhsa_float_denorm_mode_32 3
		.amdhsa_float_denorm_mode_16_64 3
		.amdhsa_dx10_clamp 1
		.amdhsa_ieee_mode 1
		.amdhsa_fp16_overflow 0
		.amdhsa_exception_fp_ieee_invalid_op 0
		.amdhsa_exception_fp_denorm_src 0
		.amdhsa_exception_fp_ieee_div_zero 0
		.amdhsa_exception_fp_ieee_overflow 0
		.amdhsa_exception_fp_ieee_underflow 0
		.amdhsa_exception_fp_ieee_inexact 0
		.amdhsa_exception_int_div_zero 0
	.end_amdhsa_kernel
	.section	.text._ZN2at6native12_GLOBAL__N_132replication_pad_forward_kernel1dIN3c107complexIfEEEEvN5torch10headeronly6detail27GenericPackedTensorAccessorINS8_14TensorAccessorINS3_8ArrayRefIlEEKT_Lm2ENS7_16DefaultPtrTraitsElEENS_6detail16IndexBoundsCheckILm3ElEESE_Lm3ESF_lEENS9_INSA_ISC_SD_Lm2ESF_lEESJ_SD_Lm3ESF_lEEiii,"axG",@progbits,_ZN2at6native12_GLOBAL__N_132replication_pad_forward_kernel1dIN3c107complexIfEEEEvN5torch10headeronly6detail27GenericPackedTensorAccessorINS8_14TensorAccessorINS3_8ArrayRefIlEEKT_Lm2ENS7_16DefaultPtrTraitsElEENS_6detail16IndexBoundsCheckILm3ElEESE_Lm3ESF_lEENS9_INSA_ISC_SD_Lm2ESF_lEESJ_SD_Lm3ESF_lEEiii,comdat
.Lfunc_end20:
	.size	_ZN2at6native12_GLOBAL__N_132replication_pad_forward_kernel1dIN3c107complexIfEEEEvN5torch10headeronly6detail27GenericPackedTensorAccessorINS8_14TensorAccessorINS3_8ArrayRefIlEEKT_Lm2ENS7_16DefaultPtrTraitsElEENS_6detail16IndexBoundsCheckILm3ElEESE_Lm3ESF_lEENS9_INSA_ISC_SD_Lm2ESF_lEESJ_SD_Lm3ESF_lEEiii, .Lfunc_end20-_ZN2at6native12_GLOBAL__N_132replication_pad_forward_kernel1dIN3c107complexIfEEEEvN5torch10headeronly6detail27GenericPackedTensorAccessorINS8_14TensorAccessorINS3_8ArrayRefIlEEKT_Lm2ENS7_16DefaultPtrTraitsElEENS_6detail16IndexBoundsCheckILm3ElEESE_Lm3ESF_lEENS9_INSA_ISC_SD_Lm2ESF_lEESJ_SD_Lm3ESF_lEEiii
                                        ; -- End function
	.set _ZN2at6native12_GLOBAL__N_132replication_pad_forward_kernel1dIN3c107complexIfEEEEvN5torch10headeronly6detail27GenericPackedTensorAccessorINS8_14TensorAccessorINS3_8ArrayRefIlEEKT_Lm2ENS7_16DefaultPtrTraitsElEENS_6detail16IndexBoundsCheckILm3ElEESE_Lm3ESF_lEENS9_INSA_ISC_SD_Lm2ESF_lEESJ_SD_Lm3ESF_lEEiii.num_vgpr, 9
	.set _ZN2at6native12_GLOBAL__N_132replication_pad_forward_kernel1dIN3c107complexIfEEEEvN5torch10headeronly6detail27GenericPackedTensorAccessorINS8_14TensorAccessorINS3_8ArrayRefIlEEKT_Lm2ENS7_16DefaultPtrTraitsElEENS_6detail16IndexBoundsCheckILm3ElEESE_Lm3ESF_lEENS9_INSA_ISC_SD_Lm2ESF_lEESJ_SD_Lm3ESF_lEEiii.num_agpr, 0
	.set _ZN2at6native12_GLOBAL__N_132replication_pad_forward_kernel1dIN3c107complexIfEEEEvN5torch10headeronly6detail27GenericPackedTensorAccessorINS8_14TensorAccessorINS3_8ArrayRefIlEEKT_Lm2ENS7_16DefaultPtrTraitsElEENS_6detail16IndexBoundsCheckILm3ElEESE_Lm3ESF_lEENS9_INSA_ISC_SD_Lm2ESF_lEESJ_SD_Lm3ESF_lEEiii.numbered_sgpr, 20
	.set _ZN2at6native12_GLOBAL__N_132replication_pad_forward_kernel1dIN3c107complexIfEEEEvN5torch10headeronly6detail27GenericPackedTensorAccessorINS8_14TensorAccessorINS3_8ArrayRefIlEEKT_Lm2ENS7_16DefaultPtrTraitsElEENS_6detail16IndexBoundsCheckILm3ElEESE_Lm3ESF_lEENS9_INSA_ISC_SD_Lm2ESF_lEESJ_SD_Lm3ESF_lEEiii.num_named_barrier, 0
	.set _ZN2at6native12_GLOBAL__N_132replication_pad_forward_kernel1dIN3c107complexIfEEEEvN5torch10headeronly6detail27GenericPackedTensorAccessorINS8_14TensorAccessorINS3_8ArrayRefIlEEKT_Lm2ENS7_16DefaultPtrTraitsElEENS_6detail16IndexBoundsCheckILm3ElEESE_Lm3ESF_lEENS9_INSA_ISC_SD_Lm2ESF_lEESJ_SD_Lm3ESF_lEEiii.private_seg_size, 0
	.set _ZN2at6native12_GLOBAL__N_132replication_pad_forward_kernel1dIN3c107complexIfEEEEvN5torch10headeronly6detail27GenericPackedTensorAccessorINS8_14TensorAccessorINS3_8ArrayRefIlEEKT_Lm2ENS7_16DefaultPtrTraitsElEENS_6detail16IndexBoundsCheckILm3ElEESE_Lm3ESF_lEENS9_INSA_ISC_SD_Lm2ESF_lEESJ_SD_Lm3ESF_lEEiii.uses_vcc, 1
	.set _ZN2at6native12_GLOBAL__N_132replication_pad_forward_kernel1dIN3c107complexIfEEEEvN5torch10headeronly6detail27GenericPackedTensorAccessorINS8_14TensorAccessorINS3_8ArrayRefIlEEKT_Lm2ENS7_16DefaultPtrTraitsElEENS_6detail16IndexBoundsCheckILm3ElEESE_Lm3ESF_lEENS9_INSA_ISC_SD_Lm2ESF_lEESJ_SD_Lm3ESF_lEEiii.uses_flat_scratch, 0
	.set _ZN2at6native12_GLOBAL__N_132replication_pad_forward_kernel1dIN3c107complexIfEEEEvN5torch10headeronly6detail27GenericPackedTensorAccessorINS8_14TensorAccessorINS3_8ArrayRefIlEEKT_Lm2ENS7_16DefaultPtrTraitsElEENS_6detail16IndexBoundsCheckILm3ElEESE_Lm3ESF_lEENS9_INSA_ISC_SD_Lm2ESF_lEESJ_SD_Lm3ESF_lEEiii.has_dyn_sized_stack, 0
	.set _ZN2at6native12_GLOBAL__N_132replication_pad_forward_kernel1dIN3c107complexIfEEEEvN5torch10headeronly6detail27GenericPackedTensorAccessorINS8_14TensorAccessorINS3_8ArrayRefIlEEKT_Lm2ENS7_16DefaultPtrTraitsElEENS_6detail16IndexBoundsCheckILm3ElEESE_Lm3ESF_lEENS9_INSA_ISC_SD_Lm2ESF_lEESJ_SD_Lm3ESF_lEEiii.has_recursion, 0
	.set _ZN2at6native12_GLOBAL__N_132replication_pad_forward_kernel1dIN3c107complexIfEEEEvN5torch10headeronly6detail27GenericPackedTensorAccessorINS8_14TensorAccessorINS3_8ArrayRefIlEEKT_Lm2ENS7_16DefaultPtrTraitsElEENS_6detail16IndexBoundsCheckILm3ElEESE_Lm3ESF_lEENS9_INSA_ISC_SD_Lm2ESF_lEESJ_SD_Lm3ESF_lEEiii.has_indirect_call, 0
	.section	.AMDGPU.csdata,"",@progbits
; Kernel info:
; codeLenInByte = 1076
; TotalNumSgprs: 24
; NumVgprs: 9
; ScratchSize: 0
; MemoryBound: 0
; FloatMode: 240
; IeeeMode: 1
; LDSByteSize: 0 bytes/workgroup (compile time only)
; SGPRBlocks: 2
; VGPRBlocks: 2
; NumSGPRsForWavesPerEU: 24
; NumVGPRsForWavesPerEU: 9
; Occupancy: 10
; WaveLimiterHint : 1
; COMPUTE_PGM_RSRC2:SCRATCH_EN: 0
; COMPUTE_PGM_RSRC2:USER_SGPR: 6
; COMPUTE_PGM_RSRC2:TRAP_HANDLER: 0
; COMPUTE_PGM_RSRC2:TGID_X_EN: 1
; COMPUTE_PGM_RSRC2:TGID_Y_EN: 1
; COMPUTE_PGM_RSRC2:TGID_Z_EN: 1
; COMPUTE_PGM_RSRC2:TIDIG_COMP_CNT: 0
	.section	.text._ZN2at6native12_GLOBAL__N_132replication_pad_forward_kernel1dIN3c104HalfEEEvN5torch10headeronly6detail27GenericPackedTensorAccessorINS7_14TensorAccessorINS3_8ArrayRefIlEEKT_Lm2ENS6_16DefaultPtrTraitsElEENS_6detail16IndexBoundsCheckILm3ElEESD_Lm3ESE_lEENS8_INS9_ISB_SC_Lm2ESE_lEESI_SC_Lm3ESE_lEEiii,"axG",@progbits,_ZN2at6native12_GLOBAL__N_132replication_pad_forward_kernel1dIN3c104HalfEEEvN5torch10headeronly6detail27GenericPackedTensorAccessorINS7_14TensorAccessorINS3_8ArrayRefIlEEKT_Lm2ENS6_16DefaultPtrTraitsElEENS_6detail16IndexBoundsCheckILm3ElEESD_Lm3ESE_lEENS8_INS9_ISB_SC_Lm2ESE_lEESI_SC_Lm3ESE_lEEiii,comdat
	.globl	_ZN2at6native12_GLOBAL__N_132replication_pad_forward_kernel1dIN3c104HalfEEEvN5torch10headeronly6detail27GenericPackedTensorAccessorINS7_14TensorAccessorINS3_8ArrayRefIlEEKT_Lm2ENS6_16DefaultPtrTraitsElEENS_6detail16IndexBoundsCheckILm3ElEESD_Lm3ESE_lEENS8_INS9_ISB_SC_Lm2ESE_lEESI_SC_Lm3ESE_lEEiii ; -- Begin function _ZN2at6native12_GLOBAL__N_132replication_pad_forward_kernel1dIN3c104HalfEEEvN5torch10headeronly6detail27GenericPackedTensorAccessorINS7_14TensorAccessorINS3_8ArrayRefIlEEKT_Lm2ENS6_16DefaultPtrTraitsElEENS_6detail16IndexBoundsCheckILm3ElEESD_Lm3ESE_lEENS8_INS9_ISB_SC_Lm2ESE_lEESI_SC_Lm3ESE_lEEiii
	.p2align	8
	.type	_ZN2at6native12_GLOBAL__N_132replication_pad_forward_kernel1dIN3c104HalfEEEvN5torch10headeronly6detail27GenericPackedTensorAccessorINS7_14TensorAccessorINS3_8ArrayRefIlEEKT_Lm2ENS6_16DefaultPtrTraitsElEENS_6detail16IndexBoundsCheckILm3ElEESD_Lm3ESE_lEENS8_INS9_ISB_SC_Lm2ESE_lEESI_SC_Lm3ESE_lEEiii,@function
_ZN2at6native12_GLOBAL__N_132replication_pad_forward_kernel1dIN3c104HalfEEEvN5torch10headeronly6detail27GenericPackedTensorAccessorINS7_14TensorAccessorINS3_8ArrayRefIlEEKT_Lm2ENS6_16DefaultPtrTraitsElEENS_6detail16IndexBoundsCheckILm3ElEESD_Lm3ESE_lEENS8_INS9_ISB_SC_Lm2ESE_lEESI_SC_Lm3ESE_lEEiii: ; @_ZN2at6native12_GLOBAL__N_132replication_pad_forward_kernel1dIN3c104HalfEEEvN5torch10headeronly6detail27GenericPackedTensorAccessorINS7_14TensorAccessorINS3_8ArrayRefIlEEKT_Lm2ENS6_16DefaultPtrTraitsElEENS_6detail16IndexBoundsCheckILm3ElEESD_Lm3ESE_lEENS8_INS9_ISB_SC_Lm2ESE_lEESI_SC_Lm3ESE_lEEiii
; %bb.0:
	s_load_dword s0, s[4:5], 0x8c
	s_load_dwordx2 s[10:11], s[4:5], 0x50
	v_mov_b32_e32 v2, 0
	v_mov_b32_e32 v1, v2
	;; [unrolled: 1-line block ×3, first 2 shown]
	s_waitcnt lgkmcnt(0)
	s_and_b32 s0, s0, 0xffff
	v_mad_u64_u32 v[0:1], s[0:1], s0, v3, v[0:1]
	v_cmp_gt_i64_e32 vcc, s[10:11], v[0:1]
	s_and_saveexec_b64 s[0:1], vcc
	s_cbranch_execz .LBB21_6
; %bb.1:
	v_or_b32_e32 v3, s11, v1
	v_cmp_ne_u64_e32 vcc, 0, v[2:3]
                                        ; implicit-def: $vgpr2_vgpr3
	s_and_saveexec_b64 s[0:1], vcc
	s_xor_b64 s[12:13], exec, s[0:1]
	s_cbranch_execz .LBB21_3
; %bb.2:
	v_cvt_f32_u32_e32 v2, s10
	v_cvt_f32_u32_e32 v3, s11
	s_sub_u32 s2, 0, s10
	s_subb_u32 s3, 0, s11
	v_madmk_f32 v2, v3, 0x4f800000, v2
	v_rcp_f32_e32 v2, v2
	v_mul_f32_e32 v2, 0x5f7ffffc, v2
	v_mul_f32_e32 v3, 0x2f800000, v2
	v_trunc_f32_e32 v3, v3
	v_madmk_f32 v2, v3, 0xcf800000, v2
	v_cvt_u32_f32_e32 v3, v3
	v_cvt_u32_f32_e32 v2, v2
	v_readfirstlane_b32 s6, v3
	v_readfirstlane_b32 s0, v2
	s_mul_i32 s1, s2, s6
	s_mul_hi_u32 s14, s2, s0
	s_mul_i32 s9, s3, s0
	s_add_i32 s1, s14, s1
	s_mul_i32 s15, s2, s0
	s_add_i32 s1, s1, s9
	s_mul_i32 s14, s0, s1
	s_mul_hi_u32 s16, s0, s15
	s_mul_hi_u32 s9, s0, s1
	s_add_u32 s14, s16, s14
	s_addc_u32 s9, 0, s9
	s_mul_hi_u32 s17, s6, s15
	s_mul_i32 s15, s6, s15
	s_add_u32 s14, s14, s15
	s_mul_hi_u32 s16, s6, s1
	s_addc_u32 s9, s9, s17
	s_addc_u32 s14, s16, 0
	s_mul_i32 s1, s6, s1
	s_add_u32 s1, s9, s1
	s_addc_u32 s9, 0, s14
	s_add_u32 s14, s0, s1
	s_cselect_b64 s[0:1], -1, 0
	s_cmp_lg_u64 s[0:1], 0
	s_addc_u32 s6, s6, s9
	s_mul_i32 s0, s2, s6
	s_mul_hi_u32 s1, s2, s14
	s_add_i32 s0, s1, s0
	s_mul_i32 s3, s3, s14
	s_add_i32 s0, s0, s3
	s_mul_i32 s2, s2, s14
	s_mul_hi_u32 s3, s6, s2
	s_mul_i32 s9, s6, s2
	s_mul_i32 s16, s14, s0
	s_mul_hi_u32 s2, s14, s2
	s_mul_hi_u32 s15, s14, s0
	s_add_u32 s2, s2, s16
	s_addc_u32 s15, 0, s15
	s_add_u32 s2, s2, s9
	s_mul_hi_u32 s1, s6, s0
	s_addc_u32 s2, s15, s3
	s_addc_u32 s1, s1, 0
	s_mul_i32 s0, s6, s0
	s_add_u32 s0, s2, s0
	s_addc_u32 s2, 0, s1
	s_add_u32 s3, s14, s0
	s_cselect_b64 s[0:1], -1, 0
	s_cmp_lg_u64 s[0:1], 0
	s_addc_u32 s2, s6, s2
	v_mad_u64_u32 v[2:3], s[0:1], v0, s2, 0
	v_mul_hi_u32 v4, v0, s3
	v_add_co_u32_e32 v6, vcc, v4, v2
	v_addc_co_u32_e32 v7, vcc, 0, v3, vcc
	v_mad_u64_u32 v[2:3], s[0:1], v1, s3, 0
	v_mad_u64_u32 v[4:5], s[0:1], v1, s2, 0
	v_add_co_u32_e32 v2, vcc, v6, v2
	v_addc_co_u32_e32 v2, vcc, v7, v3, vcc
	v_addc_co_u32_e32 v3, vcc, 0, v5, vcc
	v_add_co_u32_e32 v2, vcc, v2, v4
	v_addc_co_u32_e32 v3, vcc, 0, v3, vcc
	v_mul_lo_u32 v4, s11, v2
	v_mul_lo_u32 v5, s10, v3
	v_mad_u64_u32 v[2:3], s[0:1], s10, v2, 0
	v_add3_u32 v3, v3, v5, v4
	v_sub_u32_e32 v4, v1, v3
	v_mov_b32_e32 v5, s11
	v_sub_co_u32_e32 v0, vcc, v0, v2
	v_subb_co_u32_e64 v2, s[0:1], v4, v5, vcc
	v_subrev_co_u32_e64 v4, s[0:1], s10, v0
	v_subbrev_co_u32_e64 v6, s[2:3], 0, v2, s[0:1]
	v_cmp_le_u32_e64 s[2:3], s11, v6
	v_cndmask_b32_e64 v7, 0, -1, s[2:3]
	v_cmp_le_u32_e64 s[2:3], s10, v4
	v_subb_co_u32_e64 v2, s[0:1], v2, v5, s[0:1]
	v_cndmask_b32_e64 v8, 0, -1, s[2:3]
	v_cmp_eq_u32_e64 s[2:3], s11, v6
	v_subrev_co_u32_e64 v5, s[0:1], s10, v4
	v_subb_co_u32_e32 v1, vcc, v1, v3, vcc
	v_cndmask_b32_e64 v7, v7, v8, s[2:3]
	v_subbrev_co_u32_e64 v2, s[0:1], 0, v2, s[0:1]
	v_cmp_le_u32_e32 vcc, s11, v1
	v_cmp_ne_u32_e64 s[0:1], 0, v7
	v_cndmask_b32_e64 v3, 0, -1, vcc
	v_cmp_le_u32_e32 vcc, s10, v0
	v_cndmask_b32_e64 v2, v6, v2, s[0:1]
	v_cndmask_b32_e64 v6, 0, -1, vcc
	v_cmp_eq_u32_e32 vcc, s11, v1
	v_cndmask_b32_e32 v3, v3, v6, vcc
	v_cmp_ne_u32_e32 vcc, 0, v3
	v_cndmask_b32_e32 v3, v1, v2, vcc
	v_cndmask_b32_e64 v1, v4, v5, s[0:1]
	v_cndmask_b32_e32 v2, v0, v1, vcc
                                        ; implicit-def: $vgpr0_vgpr1
.LBB21_3:
	s_andn2_saveexec_b64 s[0:1], s[12:13]
	s_cbranch_execz .LBB21_5
; %bb.4:
	v_cvt_f32_u32_e32 v1, s10
	s_sub_i32 s2, 0, s10
	v_mov_b32_e32 v3, 0
	v_rcp_iflag_f32_e32 v1, v1
	v_mul_f32_e32 v1, 0x4f7ffffe, v1
	v_cvt_u32_f32_e32 v1, v1
	v_mul_lo_u32 v2, s2, v1
	v_mul_hi_u32 v2, v1, v2
	v_add_u32_e32 v1, v1, v2
	v_mul_hi_u32 v1, v0, v1
	v_mul_lo_u32 v1, v1, s10
	v_sub_u32_e32 v0, v0, v1
	v_subrev_u32_e32 v1, s10, v0
	v_cmp_le_u32_e32 vcc, s10, v0
	v_cndmask_b32_e32 v0, v0, v1, vcc
	v_subrev_u32_e32 v1, s10, v0
	v_cmp_le_u32_e32 vcc, s10, v0
	v_cndmask_b32_e32 v2, v0, v1, vcc
.LBB21_5:
	s_or_b64 exec, exec, s[0:1]
	s_load_dwordx4 s[0:3], s[4:5], 0x70
	s_load_dwordx8 s[12:19], s[4:5], 0x18
	s_load_dwordx2 s[10:11], s[4:5], 0x68
	s_waitcnt lgkmcnt(0)
	s_add_i32 s9, s1, s7
	s_sub_i32 s1, 0, s0
	s_max_i32 s6, s0, 0
	v_max_i32_e32 v0, s0, v2
	s_add_i32 s0, s0, s12
	s_add_i32 s8, s2, s8
	s_max_i32 s1, s1, 0
	s_load_dwordx2 s[2:3], s[4:5], 0x0
	s_add_i32 s0, s0, -1
	v_min_i32_e32 v0, s0, v0
	s_sub_i32 s0, s1, s6
	v_add_u32_e32 v0, s0, v0
	s_mul_i32 s0, s15, s8
	s_mul_hi_u32 s1, s14, s8
	s_add_i32 s1, s1, s0
	s_mul_i32 s0, s14, s8
	s_lshl_b64 s[0:1], s[0:1], 1
	s_waitcnt lgkmcnt(0)
	s_add_u32 s6, s2, s0
	v_ashrrev_i32_e32 v1, 31, v0
	s_addc_u32 s7, s3, s1
	v_mul_lo_u32 v4, s18, v1
	v_mul_lo_u32 v5, s19, v0
	v_mad_u64_u32 v[0:1], s[2:3], s18, v0, 0
	s_mul_i32 s0, s17, s9
	s_mul_hi_u32 s1, s16, s9
	s_add_i32 s1, s1, s0
	s_mul_i32 s0, s16, s9
	s_lshl_b64 s[0:1], s[0:1], 1
	v_add3_u32 v1, v1, v4, v5
	s_add_u32 s0, s6, s0
	v_lshlrev_b64 v[0:1], 1, v[0:1]
	s_addc_u32 s1, s7, s1
	v_mov_b32_e32 v4, s1
	v_add_co_u32_e32 v0, vcc, s0, v0
	v_addc_co_u32_e32 v1, vcc, v4, v1, vcc
	global_load_ushort v4, v[0:1], off
	s_load_dwordx4 s[0:3], s[4:5], 0x58
	s_load_dwordx2 s[6:7], s[4:5], 0x38
	v_mul_lo_u32 v5, s11, v2
	v_mul_lo_u32 v3, s10, v3
	s_waitcnt lgkmcnt(0)
	s_mul_i32 s1, s1, s8
	s_mul_hi_u32 s4, s0, s8
	s_add_i32 s1, s4, s1
	s_mul_i32 s0, s0, s8
	s_lshl_b64 s[0:1], s[0:1], 1
	s_add_u32 s4, s6, s0
	s_addc_u32 s5, s7, s1
	s_mul_i32 s0, s3, s9
	s_mul_hi_u32 s1, s2, s9
	s_add_i32 s1, s1, s0
	s_mul_i32 s0, s2, s9
	v_mad_u64_u32 v[0:1], s[2:3], s10, v2, 0
	s_lshl_b64 s[0:1], s[0:1], 1
	s_add_u32 s0, s4, s0
	v_add3_u32 v1, v1, v3, v5
	v_lshlrev_b64 v[0:1], 1, v[0:1]
	s_addc_u32 s1, s5, s1
	v_mov_b32_e32 v2, s1
	v_add_co_u32_e32 v0, vcc, s0, v0
	v_addc_co_u32_e32 v1, vcc, v2, v1, vcc
	s_waitcnt vmcnt(0)
	global_store_short v[0:1], v4, off
.LBB21_6:
	s_endpgm
	.section	.rodata,"a",@progbits
	.p2align	6, 0x0
	.amdhsa_kernel _ZN2at6native12_GLOBAL__N_132replication_pad_forward_kernel1dIN3c104HalfEEEvN5torch10headeronly6detail27GenericPackedTensorAccessorINS7_14TensorAccessorINS3_8ArrayRefIlEEKT_Lm2ENS6_16DefaultPtrTraitsElEENS_6detail16IndexBoundsCheckILm3ElEESD_Lm3ESE_lEENS8_INS9_ISB_SC_Lm2ESE_lEESI_SC_Lm3ESE_lEEiii
		.amdhsa_group_segment_fixed_size 0
		.amdhsa_private_segment_fixed_size 0
		.amdhsa_kernarg_size 384
		.amdhsa_user_sgpr_count 6
		.amdhsa_user_sgpr_private_segment_buffer 1
		.amdhsa_user_sgpr_dispatch_ptr 0
		.amdhsa_user_sgpr_queue_ptr 0
		.amdhsa_user_sgpr_kernarg_segment_ptr 1
		.amdhsa_user_sgpr_dispatch_id 0
		.amdhsa_user_sgpr_flat_scratch_init 0
		.amdhsa_user_sgpr_private_segment_size 0
		.amdhsa_uses_dynamic_stack 0
		.amdhsa_system_sgpr_private_segment_wavefront_offset 0
		.amdhsa_system_sgpr_workgroup_id_x 1
		.amdhsa_system_sgpr_workgroup_id_y 1
		.amdhsa_system_sgpr_workgroup_id_z 1
		.amdhsa_system_sgpr_workgroup_info 0
		.amdhsa_system_vgpr_workitem_id 0
		.amdhsa_next_free_vgpr 9
		.amdhsa_next_free_sgpr 20
		.amdhsa_reserve_vcc 1
		.amdhsa_reserve_flat_scratch 0
		.amdhsa_float_round_mode_32 0
		.amdhsa_float_round_mode_16_64 0
		.amdhsa_float_denorm_mode_32 3
		.amdhsa_float_denorm_mode_16_64 3
		.amdhsa_dx10_clamp 1
		.amdhsa_ieee_mode 1
		.amdhsa_fp16_overflow 0
		.amdhsa_exception_fp_ieee_invalid_op 0
		.amdhsa_exception_fp_denorm_src 0
		.amdhsa_exception_fp_ieee_div_zero 0
		.amdhsa_exception_fp_ieee_overflow 0
		.amdhsa_exception_fp_ieee_underflow 0
		.amdhsa_exception_fp_ieee_inexact 0
		.amdhsa_exception_int_div_zero 0
	.end_amdhsa_kernel
	.section	.text._ZN2at6native12_GLOBAL__N_132replication_pad_forward_kernel1dIN3c104HalfEEEvN5torch10headeronly6detail27GenericPackedTensorAccessorINS7_14TensorAccessorINS3_8ArrayRefIlEEKT_Lm2ENS6_16DefaultPtrTraitsElEENS_6detail16IndexBoundsCheckILm3ElEESD_Lm3ESE_lEENS8_INS9_ISB_SC_Lm2ESE_lEESI_SC_Lm3ESE_lEEiii,"axG",@progbits,_ZN2at6native12_GLOBAL__N_132replication_pad_forward_kernel1dIN3c104HalfEEEvN5torch10headeronly6detail27GenericPackedTensorAccessorINS7_14TensorAccessorINS3_8ArrayRefIlEEKT_Lm2ENS6_16DefaultPtrTraitsElEENS_6detail16IndexBoundsCheckILm3ElEESD_Lm3ESE_lEENS8_INS9_ISB_SC_Lm2ESE_lEESI_SC_Lm3ESE_lEEiii,comdat
.Lfunc_end21:
	.size	_ZN2at6native12_GLOBAL__N_132replication_pad_forward_kernel1dIN3c104HalfEEEvN5torch10headeronly6detail27GenericPackedTensorAccessorINS7_14TensorAccessorINS3_8ArrayRefIlEEKT_Lm2ENS6_16DefaultPtrTraitsElEENS_6detail16IndexBoundsCheckILm3ElEESD_Lm3ESE_lEENS8_INS9_ISB_SC_Lm2ESE_lEESI_SC_Lm3ESE_lEEiii, .Lfunc_end21-_ZN2at6native12_GLOBAL__N_132replication_pad_forward_kernel1dIN3c104HalfEEEvN5torch10headeronly6detail27GenericPackedTensorAccessorINS7_14TensorAccessorINS3_8ArrayRefIlEEKT_Lm2ENS6_16DefaultPtrTraitsElEENS_6detail16IndexBoundsCheckILm3ElEESD_Lm3ESE_lEENS8_INS9_ISB_SC_Lm2ESE_lEESI_SC_Lm3ESE_lEEiii
                                        ; -- End function
	.set _ZN2at6native12_GLOBAL__N_132replication_pad_forward_kernel1dIN3c104HalfEEEvN5torch10headeronly6detail27GenericPackedTensorAccessorINS7_14TensorAccessorINS3_8ArrayRefIlEEKT_Lm2ENS6_16DefaultPtrTraitsElEENS_6detail16IndexBoundsCheckILm3ElEESD_Lm3ESE_lEENS8_INS9_ISB_SC_Lm2ESE_lEESI_SC_Lm3ESE_lEEiii.num_vgpr, 9
	.set _ZN2at6native12_GLOBAL__N_132replication_pad_forward_kernel1dIN3c104HalfEEEvN5torch10headeronly6detail27GenericPackedTensorAccessorINS7_14TensorAccessorINS3_8ArrayRefIlEEKT_Lm2ENS6_16DefaultPtrTraitsElEENS_6detail16IndexBoundsCheckILm3ElEESD_Lm3ESE_lEENS8_INS9_ISB_SC_Lm2ESE_lEESI_SC_Lm3ESE_lEEiii.num_agpr, 0
	.set _ZN2at6native12_GLOBAL__N_132replication_pad_forward_kernel1dIN3c104HalfEEEvN5torch10headeronly6detail27GenericPackedTensorAccessorINS7_14TensorAccessorINS3_8ArrayRefIlEEKT_Lm2ENS6_16DefaultPtrTraitsElEENS_6detail16IndexBoundsCheckILm3ElEESD_Lm3ESE_lEENS8_INS9_ISB_SC_Lm2ESE_lEESI_SC_Lm3ESE_lEEiii.numbered_sgpr, 20
	.set _ZN2at6native12_GLOBAL__N_132replication_pad_forward_kernel1dIN3c104HalfEEEvN5torch10headeronly6detail27GenericPackedTensorAccessorINS7_14TensorAccessorINS3_8ArrayRefIlEEKT_Lm2ENS6_16DefaultPtrTraitsElEENS_6detail16IndexBoundsCheckILm3ElEESD_Lm3ESE_lEENS8_INS9_ISB_SC_Lm2ESE_lEESI_SC_Lm3ESE_lEEiii.num_named_barrier, 0
	.set _ZN2at6native12_GLOBAL__N_132replication_pad_forward_kernel1dIN3c104HalfEEEvN5torch10headeronly6detail27GenericPackedTensorAccessorINS7_14TensorAccessorINS3_8ArrayRefIlEEKT_Lm2ENS6_16DefaultPtrTraitsElEENS_6detail16IndexBoundsCheckILm3ElEESD_Lm3ESE_lEENS8_INS9_ISB_SC_Lm2ESE_lEESI_SC_Lm3ESE_lEEiii.private_seg_size, 0
	.set _ZN2at6native12_GLOBAL__N_132replication_pad_forward_kernel1dIN3c104HalfEEEvN5torch10headeronly6detail27GenericPackedTensorAccessorINS7_14TensorAccessorINS3_8ArrayRefIlEEKT_Lm2ENS6_16DefaultPtrTraitsElEENS_6detail16IndexBoundsCheckILm3ElEESD_Lm3ESE_lEENS8_INS9_ISB_SC_Lm2ESE_lEESI_SC_Lm3ESE_lEEiii.uses_vcc, 1
	.set _ZN2at6native12_GLOBAL__N_132replication_pad_forward_kernel1dIN3c104HalfEEEvN5torch10headeronly6detail27GenericPackedTensorAccessorINS7_14TensorAccessorINS3_8ArrayRefIlEEKT_Lm2ENS6_16DefaultPtrTraitsElEENS_6detail16IndexBoundsCheckILm3ElEESD_Lm3ESE_lEENS8_INS9_ISB_SC_Lm2ESE_lEESI_SC_Lm3ESE_lEEiii.uses_flat_scratch, 0
	.set _ZN2at6native12_GLOBAL__N_132replication_pad_forward_kernel1dIN3c104HalfEEEvN5torch10headeronly6detail27GenericPackedTensorAccessorINS7_14TensorAccessorINS3_8ArrayRefIlEEKT_Lm2ENS6_16DefaultPtrTraitsElEENS_6detail16IndexBoundsCheckILm3ElEESD_Lm3ESE_lEENS8_INS9_ISB_SC_Lm2ESE_lEESI_SC_Lm3ESE_lEEiii.has_dyn_sized_stack, 0
	.set _ZN2at6native12_GLOBAL__N_132replication_pad_forward_kernel1dIN3c104HalfEEEvN5torch10headeronly6detail27GenericPackedTensorAccessorINS7_14TensorAccessorINS3_8ArrayRefIlEEKT_Lm2ENS6_16DefaultPtrTraitsElEENS_6detail16IndexBoundsCheckILm3ElEESD_Lm3ESE_lEENS8_INS9_ISB_SC_Lm2ESE_lEESI_SC_Lm3ESE_lEEiii.has_recursion, 0
	.set _ZN2at6native12_GLOBAL__N_132replication_pad_forward_kernel1dIN3c104HalfEEEvN5torch10headeronly6detail27GenericPackedTensorAccessorINS7_14TensorAccessorINS3_8ArrayRefIlEEKT_Lm2ENS6_16DefaultPtrTraitsElEENS_6detail16IndexBoundsCheckILm3ElEESD_Lm3ESE_lEENS8_INS9_ISB_SC_Lm2ESE_lEESI_SC_Lm3ESE_lEEiii.has_indirect_call, 0
	.section	.AMDGPU.csdata,"",@progbits
; Kernel info:
; codeLenInByte = 1076
; TotalNumSgprs: 24
; NumVgprs: 9
; ScratchSize: 0
; MemoryBound: 0
; FloatMode: 240
; IeeeMode: 1
; LDSByteSize: 0 bytes/workgroup (compile time only)
; SGPRBlocks: 2
; VGPRBlocks: 2
; NumSGPRsForWavesPerEU: 24
; NumVGPRsForWavesPerEU: 9
; Occupancy: 10
; WaveLimiterHint : 1
; COMPUTE_PGM_RSRC2:SCRATCH_EN: 0
; COMPUTE_PGM_RSRC2:USER_SGPR: 6
; COMPUTE_PGM_RSRC2:TRAP_HANDLER: 0
; COMPUTE_PGM_RSRC2:TGID_X_EN: 1
; COMPUTE_PGM_RSRC2:TGID_Y_EN: 1
; COMPUTE_PGM_RSRC2:TGID_Z_EN: 1
; COMPUTE_PGM_RSRC2:TIDIG_COMP_CNT: 0
	.section	.text._ZN2at6native12_GLOBAL__N_132replication_pad_forward_kernel1dIN3c108BFloat16EEEvN5torch10headeronly6detail27GenericPackedTensorAccessorINS7_14TensorAccessorINS3_8ArrayRefIlEEKT_Lm2ENS6_16DefaultPtrTraitsElEENS_6detail16IndexBoundsCheckILm3ElEESD_Lm3ESE_lEENS8_INS9_ISB_SC_Lm2ESE_lEESI_SC_Lm3ESE_lEEiii,"axG",@progbits,_ZN2at6native12_GLOBAL__N_132replication_pad_forward_kernel1dIN3c108BFloat16EEEvN5torch10headeronly6detail27GenericPackedTensorAccessorINS7_14TensorAccessorINS3_8ArrayRefIlEEKT_Lm2ENS6_16DefaultPtrTraitsElEENS_6detail16IndexBoundsCheckILm3ElEESD_Lm3ESE_lEENS8_INS9_ISB_SC_Lm2ESE_lEESI_SC_Lm3ESE_lEEiii,comdat
	.globl	_ZN2at6native12_GLOBAL__N_132replication_pad_forward_kernel1dIN3c108BFloat16EEEvN5torch10headeronly6detail27GenericPackedTensorAccessorINS7_14TensorAccessorINS3_8ArrayRefIlEEKT_Lm2ENS6_16DefaultPtrTraitsElEENS_6detail16IndexBoundsCheckILm3ElEESD_Lm3ESE_lEENS8_INS9_ISB_SC_Lm2ESE_lEESI_SC_Lm3ESE_lEEiii ; -- Begin function _ZN2at6native12_GLOBAL__N_132replication_pad_forward_kernel1dIN3c108BFloat16EEEvN5torch10headeronly6detail27GenericPackedTensorAccessorINS7_14TensorAccessorINS3_8ArrayRefIlEEKT_Lm2ENS6_16DefaultPtrTraitsElEENS_6detail16IndexBoundsCheckILm3ElEESD_Lm3ESE_lEENS8_INS9_ISB_SC_Lm2ESE_lEESI_SC_Lm3ESE_lEEiii
	.p2align	8
	.type	_ZN2at6native12_GLOBAL__N_132replication_pad_forward_kernel1dIN3c108BFloat16EEEvN5torch10headeronly6detail27GenericPackedTensorAccessorINS7_14TensorAccessorINS3_8ArrayRefIlEEKT_Lm2ENS6_16DefaultPtrTraitsElEENS_6detail16IndexBoundsCheckILm3ElEESD_Lm3ESE_lEENS8_INS9_ISB_SC_Lm2ESE_lEESI_SC_Lm3ESE_lEEiii,@function
_ZN2at6native12_GLOBAL__N_132replication_pad_forward_kernel1dIN3c108BFloat16EEEvN5torch10headeronly6detail27GenericPackedTensorAccessorINS7_14TensorAccessorINS3_8ArrayRefIlEEKT_Lm2ENS6_16DefaultPtrTraitsElEENS_6detail16IndexBoundsCheckILm3ElEESD_Lm3ESE_lEENS8_INS9_ISB_SC_Lm2ESE_lEESI_SC_Lm3ESE_lEEiii: ; @_ZN2at6native12_GLOBAL__N_132replication_pad_forward_kernel1dIN3c108BFloat16EEEvN5torch10headeronly6detail27GenericPackedTensorAccessorINS7_14TensorAccessorINS3_8ArrayRefIlEEKT_Lm2ENS6_16DefaultPtrTraitsElEENS_6detail16IndexBoundsCheckILm3ElEESD_Lm3ESE_lEENS8_INS9_ISB_SC_Lm2ESE_lEESI_SC_Lm3ESE_lEEiii
; %bb.0:
	s_load_dword s0, s[4:5], 0x8c
	s_load_dwordx2 s[10:11], s[4:5], 0x50
	v_mov_b32_e32 v2, 0
	v_mov_b32_e32 v1, v2
	;; [unrolled: 1-line block ×3, first 2 shown]
	s_waitcnt lgkmcnt(0)
	s_and_b32 s0, s0, 0xffff
	v_mad_u64_u32 v[0:1], s[0:1], s0, v3, v[0:1]
	v_cmp_gt_i64_e32 vcc, s[10:11], v[0:1]
	s_and_saveexec_b64 s[0:1], vcc
	s_cbranch_execz .LBB22_6
; %bb.1:
	v_or_b32_e32 v3, s11, v1
	v_cmp_ne_u64_e32 vcc, 0, v[2:3]
                                        ; implicit-def: $vgpr2_vgpr3
	s_and_saveexec_b64 s[0:1], vcc
	s_xor_b64 s[12:13], exec, s[0:1]
	s_cbranch_execz .LBB22_3
; %bb.2:
	v_cvt_f32_u32_e32 v2, s10
	v_cvt_f32_u32_e32 v3, s11
	s_sub_u32 s2, 0, s10
	s_subb_u32 s3, 0, s11
	v_madmk_f32 v2, v3, 0x4f800000, v2
	v_rcp_f32_e32 v2, v2
	v_mul_f32_e32 v2, 0x5f7ffffc, v2
	v_mul_f32_e32 v3, 0x2f800000, v2
	v_trunc_f32_e32 v3, v3
	v_madmk_f32 v2, v3, 0xcf800000, v2
	v_cvt_u32_f32_e32 v3, v3
	v_cvt_u32_f32_e32 v2, v2
	v_readfirstlane_b32 s6, v3
	v_readfirstlane_b32 s0, v2
	s_mul_i32 s1, s2, s6
	s_mul_hi_u32 s14, s2, s0
	s_mul_i32 s9, s3, s0
	s_add_i32 s1, s14, s1
	s_mul_i32 s15, s2, s0
	s_add_i32 s1, s1, s9
	s_mul_i32 s14, s0, s1
	s_mul_hi_u32 s16, s0, s15
	s_mul_hi_u32 s9, s0, s1
	s_add_u32 s14, s16, s14
	s_addc_u32 s9, 0, s9
	s_mul_hi_u32 s17, s6, s15
	s_mul_i32 s15, s6, s15
	s_add_u32 s14, s14, s15
	s_mul_hi_u32 s16, s6, s1
	s_addc_u32 s9, s9, s17
	s_addc_u32 s14, s16, 0
	s_mul_i32 s1, s6, s1
	s_add_u32 s1, s9, s1
	s_addc_u32 s9, 0, s14
	s_add_u32 s14, s0, s1
	s_cselect_b64 s[0:1], -1, 0
	s_cmp_lg_u64 s[0:1], 0
	s_addc_u32 s6, s6, s9
	s_mul_i32 s0, s2, s6
	s_mul_hi_u32 s1, s2, s14
	s_add_i32 s0, s1, s0
	s_mul_i32 s3, s3, s14
	s_add_i32 s0, s0, s3
	s_mul_i32 s2, s2, s14
	s_mul_hi_u32 s3, s6, s2
	s_mul_i32 s9, s6, s2
	s_mul_i32 s16, s14, s0
	s_mul_hi_u32 s2, s14, s2
	s_mul_hi_u32 s15, s14, s0
	s_add_u32 s2, s2, s16
	s_addc_u32 s15, 0, s15
	s_add_u32 s2, s2, s9
	s_mul_hi_u32 s1, s6, s0
	s_addc_u32 s2, s15, s3
	s_addc_u32 s1, s1, 0
	s_mul_i32 s0, s6, s0
	s_add_u32 s0, s2, s0
	s_addc_u32 s2, 0, s1
	s_add_u32 s3, s14, s0
	s_cselect_b64 s[0:1], -1, 0
	s_cmp_lg_u64 s[0:1], 0
	s_addc_u32 s2, s6, s2
	v_mad_u64_u32 v[2:3], s[0:1], v0, s2, 0
	v_mul_hi_u32 v4, v0, s3
	v_add_co_u32_e32 v6, vcc, v4, v2
	v_addc_co_u32_e32 v7, vcc, 0, v3, vcc
	v_mad_u64_u32 v[2:3], s[0:1], v1, s3, 0
	v_mad_u64_u32 v[4:5], s[0:1], v1, s2, 0
	v_add_co_u32_e32 v2, vcc, v6, v2
	v_addc_co_u32_e32 v2, vcc, v7, v3, vcc
	v_addc_co_u32_e32 v3, vcc, 0, v5, vcc
	v_add_co_u32_e32 v2, vcc, v2, v4
	v_addc_co_u32_e32 v3, vcc, 0, v3, vcc
	v_mul_lo_u32 v4, s11, v2
	v_mul_lo_u32 v5, s10, v3
	v_mad_u64_u32 v[2:3], s[0:1], s10, v2, 0
	v_add3_u32 v3, v3, v5, v4
	v_sub_u32_e32 v4, v1, v3
	v_mov_b32_e32 v5, s11
	v_sub_co_u32_e32 v0, vcc, v0, v2
	v_subb_co_u32_e64 v2, s[0:1], v4, v5, vcc
	v_subrev_co_u32_e64 v4, s[0:1], s10, v0
	v_subbrev_co_u32_e64 v6, s[2:3], 0, v2, s[0:1]
	v_cmp_le_u32_e64 s[2:3], s11, v6
	v_cndmask_b32_e64 v7, 0, -1, s[2:3]
	v_cmp_le_u32_e64 s[2:3], s10, v4
	v_subb_co_u32_e64 v2, s[0:1], v2, v5, s[0:1]
	v_cndmask_b32_e64 v8, 0, -1, s[2:3]
	v_cmp_eq_u32_e64 s[2:3], s11, v6
	v_subrev_co_u32_e64 v5, s[0:1], s10, v4
	v_subb_co_u32_e32 v1, vcc, v1, v3, vcc
	v_cndmask_b32_e64 v7, v7, v8, s[2:3]
	v_subbrev_co_u32_e64 v2, s[0:1], 0, v2, s[0:1]
	v_cmp_le_u32_e32 vcc, s11, v1
	v_cmp_ne_u32_e64 s[0:1], 0, v7
	v_cndmask_b32_e64 v3, 0, -1, vcc
	v_cmp_le_u32_e32 vcc, s10, v0
	v_cndmask_b32_e64 v2, v6, v2, s[0:1]
	v_cndmask_b32_e64 v6, 0, -1, vcc
	v_cmp_eq_u32_e32 vcc, s11, v1
	v_cndmask_b32_e32 v3, v3, v6, vcc
	v_cmp_ne_u32_e32 vcc, 0, v3
	v_cndmask_b32_e32 v3, v1, v2, vcc
	v_cndmask_b32_e64 v1, v4, v5, s[0:1]
	v_cndmask_b32_e32 v2, v0, v1, vcc
                                        ; implicit-def: $vgpr0_vgpr1
.LBB22_3:
	s_andn2_saveexec_b64 s[0:1], s[12:13]
	s_cbranch_execz .LBB22_5
; %bb.4:
	v_cvt_f32_u32_e32 v1, s10
	s_sub_i32 s2, 0, s10
	v_mov_b32_e32 v3, 0
	v_rcp_iflag_f32_e32 v1, v1
	v_mul_f32_e32 v1, 0x4f7ffffe, v1
	v_cvt_u32_f32_e32 v1, v1
	v_mul_lo_u32 v2, s2, v1
	v_mul_hi_u32 v2, v1, v2
	v_add_u32_e32 v1, v1, v2
	v_mul_hi_u32 v1, v0, v1
	v_mul_lo_u32 v1, v1, s10
	v_sub_u32_e32 v0, v0, v1
	v_subrev_u32_e32 v1, s10, v0
	v_cmp_le_u32_e32 vcc, s10, v0
	v_cndmask_b32_e32 v0, v0, v1, vcc
	v_subrev_u32_e32 v1, s10, v0
	v_cmp_le_u32_e32 vcc, s10, v0
	v_cndmask_b32_e32 v2, v0, v1, vcc
.LBB22_5:
	s_or_b64 exec, exec, s[0:1]
	s_load_dwordx4 s[0:3], s[4:5], 0x70
	s_load_dwordx8 s[12:19], s[4:5], 0x18
	s_load_dwordx2 s[10:11], s[4:5], 0x68
	s_waitcnt lgkmcnt(0)
	s_add_i32 s9, s1, s7
	s_sub_i32 s1, 0, s0
	s_max_i32 s6, s0, 0
	v_max_i32_e32 v0, s0, v2
	s_add_i32 s0, s0, s12
	s_add_i32 s8, s2, s8
	s_max_i32 s1, s1, 0
	s_load_dwordx2 s[2:3], s[4:5], 0x0
	s_add_i32 s0, s0, -1
	v_min_i32_e32 v0, s0, v0
	s_sub_i32 s0, s1, s6
	v_add_u32_e32 v0, s0, v0
	s_mul_i32 s0, s15, s8
	s_mul_hi_u32 s1, s14, s8
	s_add_i32 s1, s1, s0
	s_mul_i32 s0, s14, s8
	s_lshl_b64 s[0:1], s[0:1], 1
	s_waitcnt lgkmcnt(0)
	s_add_u32 s6, s2, s0
	v_ashrrev_i32_e32 v1, 31, v0
	s_addc_u32 s7, s3, s1
	v_mul_lo_u32 v4, s18, v1
	v_mul_lo_u32 v5, s19, v0
	v_mad_u64_u32 v[0:1], s[2:3], s18, v0, 0
	s_mul_i32 s0, s17, s9
	s_mul_hi_u32 s1, s16, s9
	s_add_i32 s1, s1, s0
	s_mul_i32 s0, s16, s9
	s_lshl_b64 s[0:1], s[0:1], 1
	v_add3_u32 v1, v1, v4, v5
	s_add_u32 s0, s6, s0
	v_lshlrev_b64 v[0:1], 1, v[0:1]
	s_addc_u32 s1, s7, s1
	v_mov_b32_e32 v4, s1
	v_add_co_u32_e32 v0, vcc, s0, v0
	v_addc_co_u32_e32 v1, vcc, v4, v1, vcc
	global_load_ushort v4, v[0:1], off
	s_load_dwordx4 s[0:3], s[4:5], 0x58
	s_load_dwordx2 s[6:7], s[4:5], 0x38
	v_mul_lo_u32 v5, s11, v2
	v_mul_lo_u32 v3, s10, v3
	s_waitcnt lgkmcnt(0)
	s_mul_i32 s1, s1, s8
	s_mul_hi_u32 s4, s0, s8
	s_add_i32 s1, s4, s1
	s_mul_i32 s0, s0, s8
	s_lshl_b64 s[0:1], s[0:1], 1
	s_add_u32 s4, s6, s0
	s_addc_u32 s5, s7, s1
	s_mul_i32 s0, s3, s9
	s_mul_hi_u32 s1, s2, s9
	s_add_i32 s1, s1, s0
	s_mul_i32 s0, s2, s9
	v_mad_u64_u32 v[0:1], s[2:3], s10, v2, 0
	s_lshl_b64 s[0:1], s[0:1], 1
	s_add_u32 s0, s4, s0
	v_add3_u32 v1, v1, v3, v5
	v_lshlrev_b64 v[0:1], 1, v[0:1]
	s_addc_u32 s1, s5, s1
	v_mov_b32_e32 v2, s1
	v_add_co_u32_e32 v0, vcc, s0, v0
	v_addc_co_u32_e32 v1, vcc, v2, v1, vcc
	s_waitcnt vmcnt(0)
	global_store_short v[0:1], v4, off
.LBB22_6:
	s_endpgm
	.section	.rodata,"a",@progbits
	.p2align	6, 0x0
	.amdhsa_kernel _ZN2at6native12_GLOBAL__N_132replication_pad_forward_kernel1dIN3c108BFloat16EEEvN5torch10headeronly6detail27GenericPackedTensorAccessorINS7_14TensorAccessorINS3_8ArrayRefIlEEKT_Lm2ENS6_16DefaultPtrTraitsElEENS_6detail16IndexBoundsCheckILm3ElEESD_Lm3ESE_lEENS8_INS9_ISB_SC_Lm2ESE_lEESI_SC_Lm3ESE_lEEiii
		.amdhsa_group_segment_fixed_size 0
		.amdhsa_private_segment_fixed_size 0
		.amdhsa_kernarg_size 384
		.amdhsa_user_sgpr_count 6
		.amdhsa_user_sgpr_private_segment_buffer 1
		.amdhsa_user_sgpr_dispatch_ptr 0
		.amdhsa_user_sgpr_queue_ptr 0
		.amdhsa_user_sgpr_kernarg_segment_ptr 1
		.amdhsa_user_sgpr_dispatch_id 0
		.amdhsa_user_sgpr_flat_scratch_init 0
		.amdhsa_user_sgpr_private_segment_size 0
		.amdhsa_uses_dynamic_stack 0
		.amdhsa_system_sgpr_private_segment_wavefront_offset 0
		.amdhsa_system_sgpr_workgroup_id_x 1
		.amdhsa_system_sgpr_workgroup_id_y 1
		.amdhsa_system_sgpr_workgroup_id_z 1
		.amdhsa_system_sgpr_workgroup_info 0
		.amdhsa_system_vgpr_workitem_id 0
		.amdhsa_next_free_vgpr 9
		.amdhsa_next_free_sgpr 20
		.amdhsa_reserve_vcc 1
		.amdhsa_reserve_flat_scratch 0
		.amdhsa_float_round_mode_32 0
		.amdhsa_float_round_mode_16_64 0
		.amdhsa_float_denorm_mode_32 3
		.amdhsa_float_denorm_mode_16_64 3
		.amdhsa_dx10_clamp 1
		.amdhsa_ieee_mode 1
		.amdhsa_fp16_overflow 0
		.amdhsa_exception_fp_ieee_invalid_op 0
		.amdhsa_exception_fp_denorm_src 0
		.amdhsa_exception_fp_ieee_div_zero 0
		.amdhsa_exception_fp_ieee_overflow 0
		.amdhsa_exception_fp_ieee_underflow 0
		.amdhsa_exception_fp_ieee_inexact 0
		.amdhsa_exception_int_div_zero 0
	.end_amdhsa_kernel
	.section	.text._ZN2at6native12_GLOBAL__N_132replication_pad_forward_kernel1dIN3c108BFloat16EEEvN5torch10headeronly6detail27GenericPackedTensorAccessorINS7_14TensorAccessorINS3_8ArrayRefIlEEKT_Lm2ENS6_16DefaultPtrTraitsElEENS_6detail16IndexBoundsCheckILm3ElEESD_Lm3ESE_lEENS8_INS9_ISB_SC_Lm2ESE_lEESI_SC_Lm3ESE_lEEiii,"axG",@progbits,_ZN2at6native12_GLOBAL__N_132replication_pad_forward_kernel1dIN3c108BFloat16EEEvN5torch10headeronly6detail27GenericPackedTensorAccessorINS7_14TensorAccessorINS3_8ArrayRefIlEEKT_Lm2ENS6_16DefaultPtrTraitsElEENS_6detail16IndexBoundsCheckILm3ElEESD_Lm3ESE_lEENS8_INS9_ISB_SC_Lm2ESE_lEESI_SC_Lm3ESE_lEEiii,comdat
.Lfunc_end22:
	.size	_ZN2at6native12_GLOBAL__N_132replication_pad_forward_kernel1dIN3c108BFloat16EEEvN5torch10headeronly6detail27GenericPackedTensorAccessorINS7_14TensorAccessorINS3_8ArrayRefIlEEKT_Lm2ENS6_16DefaultPtrTraitsElEENS_6detail16IndexBoundsCheckILm3ElEESD_Lm3ESE_lEENS8_INS9_ISB_SC_Lm2ESE_lEESI_SC_Lm3ESE_lEEiii, .Lfunc_end22-_ZN2at6native12_GLOBAL__N_132replication_pad_forward_kernel1dIN3c108BFloat16EEEvN5torch10headeronly6detail27GenericPackedTensorAccessorINS7_14TensorAccessorINS3_8ArrayRefIlEEKT_Lm2ENS6_16DefaultPtrTraitsElEENS_6detail16IndexBoundsCheckILm3ElEESD_Lm3ESE_lEENS8_INS9_ISB_SC_Lm2ESE_lEESI_SC_Lm3ESE_lEEiii
                                        ; -- End function
	.set _ZN2at6native12_GLOBAL__N_132replication_pad_forward_kernel1dIN3c108BFloat16EEEvN5torch10headeronly6detail27GenericPackedTensorAccessorINS7_14TensorAccessorINS3_8ArrayRefIlEEKT_Lm2ENS6_16DefaultPtrTraitsElEENS_6detail16IndexBoundsCheckILm3ElEESD_Lm3ESE_lEENS8_INS9_ISB_SC_Lm2ESE_lEESI_SC_Lm3ESE_lEEiii.num_vgpr, 9
	.set _ZN2at6native12_GLOBAL__N_132replication_pad_forward_kernel1dIN3c108BFloat16EEEvN5torch10headeronly6detail27GenericPackedTensorAccessorINS7_14TensorAccessorINS3_8ArrayRefIlEEKT_Lm2ENS6_16DefaultPtrTraitsElEENS_6detail16IndexBoundsCheckILm3ElEESD_Lm3ESE_lEENS8_INS9_ISB_SC_Lm2ESE_lEESI_SC_Lm3ESE_lEEiii.num_agpr, 0
	.set _ZN2at6native12_GLOBAL__N_132replication_pad_forward_kernel1dIN3c108BFloat16EEEvN5torch10headeronly6detail27GenericPackedTensorAccessorINS7_14TensorAccessorINS3_8ArrayRefIlEEKT_Lm2ENS6_16DefaultPtrTraitsElEENS_6detail16IndexBoundsCheckILm3ElEESD_Lm3ESE_lEENS8_INS9_ISB_SC_Lm2ESE_lEESI_SC_Lm3ESE_lEEiii.numbered_sgpr, 20
	.set _ZN2at6native12_GLOBAL__N_132replication_pad_forward_kernel1dIN3c108BFloat16EEEvN5torch10headeronly6detail27GenericPackedTensorAccessorINS7_14TensorAccessorINS3_8ArrayRefIlEEKT_Lm2ENS6_16DefaultPtrTraitsElEENS_6detail16IndexBoundsCheckILm3ElEESD_Lm3ESE_lEENS8_INS9_ISB_SC_Lm2ESE_lEESI_SC_Lm3ESE_lEEiii.num_named_barrier, 0
	.set _ZN2at6native12_GLOBAL__N_132replication_pad_forward_kernel1dIN3c108BFloat16EEEvN5torch10headeronly6detail27GenericPackedTensorAccessorINS7_14TensorAccessorINS3_8ArrayRefIlEEKT_Lm2ENS6_16DefaultPtrTraitsElEENS_6detail16IndexBoundsCheckILm3ElEESD_Lm3ESE_lEENS8_INS9_ISB_SC_Lm2ESE_lEESI_SC_Lm3ESE_lEEiii.private_seg_size, 0
	.set _ZN2at6native12_GLOBAL__N_132replication_pad_forward_kernel1dIN3c108BFloat16EEEvN5torch10headeronly6detail27GenericPackedTensorAccessorINS7_14TensorAccessorINS3_8ArrayRefIlEEKT_Lm2ENS6_16DefaultPtrTraitsElEENS_6detail16IndexBoundsCheckILm3ElEESD_Lm3ESE_lEENS8_INS9_ISB_SC_Lm2ESE_lEESI_SC_Lm3ESE_lEEiii.uses_vcc, 1
	.set _ZN2at6native12_GLOBAL__N_132replication_pad_forward_kernel1dIN3c108BFloat16EEEvN5torch10headeronly6detail27GenericPackedTensorAccessorINS7_14TensorAccessorINS3_8ArrayRefIlEEKT_Lm2ENS6_16DefaultPtrTraitsElEENS_6detail16IndexBoundsCheckILm3ElEESD_Lm3ESE_lEENS8_INS9_ISB_SC_Lm2ESE_lEESI_SC_Lm3ESE_lEEiii.uses_flat_scratch, 0
	.set _ZN2at6native12_GLOBAL__N_132replication_pad_forward_kernel1dIN3c108BFloat16EEEvN5torch10headeronly6detail27GenericPackedTensorAccessorINS7_14TensorAccessorINS3_8ArrayRefIlEEKT_Lm2ENS6_16DefaultPtrTraitsElEENS_6detail16IndexBoundsCheckILm3ElEESD_Lm3ESE_lEENS8_INS9_ISB_SC_Lm2ESE_lEESI_SC_Lm3ESE_lEEiii.has_dyn_sized_stack, 0
	.set _ZN2at6native12_GLOBAL__N_132replication_pad_forward_kernel1dIN3c108BFloat16EEEvN5torch10headeronly6detail27GenericPackedTensorAccessorINS7_14TensorAccessorINS3_8ArrayRefIlEEKT_Lm2ENS6_16DefaultPtrTraitsElEENS_6detail16IndexBoundsCheckILm3ElEESD_Lm3ESE_lEENS8_INS9_ISB_SC_Lm2ESE_lEESI_SC_Lm3ESE_lEEiii.has_recursion, 0
	.set _ZN2at6native12_GLOBAL__N_132replication_pad_forward_kernel1dIN3c108BFloat16EEEvN5torch10headeronly6detail27GenericPackedTensorAccessorINS7_14TensorAccessorINS3_8ArrayRefIlEEKT_Lm2ENS6_16DefaultPtrTraitsElEENS_6detail16IndexBoundsCheckILm3ElEESD_Lm3ESE_lEENS8_INS9_ISB_SC_Lm2ESE_lEESI_SC_Lm3ESE_lEEiii.has_indirect_call, 0
	.section	.AMDGPU.csdata,"",@progbits
; Kernel info:
; codeLenInByte = 1076
; TotalNumSgprs: 24
; NumVgprs: 9
; ScratchSize: 0
; MemoryBound: 0
; FloatMode: 240
; IeeeMode: 1
; LDSByteSize: 0 bytes/workgroup (compile time only)
; SGPRBlocks: 2
; VGPRBlocks: 2
; NumSGPRsForWavesPerEU: 24
; NumVGPRsForWavesPerEU: 9
; Occupancy: 10
; WaveLimiterHint : 1
; COMPUTE_PGM_RSRC2:SCRATCH_EN: 0
; COMPUTE_PGM_RSRC2:USER_SGPR: 6
; COMPUTE_PGM_RSRC2:TRAP_HANDLER: 0
; COMPUTE_PGM_RSRC2:TGID_X_EN: 1
; COMPUTE_PGM_RSRC2:TGID_Y_EN: 1
; COMPUTE_PGM_RSRC2:TGID_Z_EN: 1
; COMPUTE_PGM_RSRC2:TIDIG_COMP_CNT: 0
	.section	.text._ZN2at6native12_GLOBAL__N_131replication_pad_backward_kernelIdEEvN5torch10headeronly6detail27GenericPackedTensorAccessorINS5_14TensorAccessorIN3c108ArrayRefIlEET_Lm2ENS4_16DefaultPtrTraitsElEENS_6detail16IndexBoundsCheckILm3ElEESB_Lm3ESC_lEENS6_INS7_ISA_KSB_Lm2ESC_lEESG_SI_Lm3ESC_lEEiii,"axG",@progbits,_ZN2at6native12_GLOBAL__N_131replication_pad_backward_kernelIdEEvN5torch10headeronly6detail27GenericPackedTensorAccessorINS5_14TensorAccessorIN3c108ArrayRefIlEET_Lm2ENS4_16DefaultPtrTraitsElEENS_6detail16IndexBoundsCheckILm3ElEESB_Lm3ESC_lEENS6_INS7_ISA_KSB_Lm2ESC_lEESG_SI_Lm3ESC_lEEiii,comdat
	.globl	_ZN2at6native12_GLOBAL__N_131replication_pad_backward_kernelIdEEvN5torch10headeronly6detail27GenericPackedTensorAccessorINS5_14TensorAccessorIN3c108ArrayRefIlEET_Lm2ENS4_16DefaultPtrTraitsElEENS_6detail16IndexBoundsCheckILm3ElEESB_Lm3ESC_lEENS6_INS7_ISA_KSB_Lm2ESC_lEESG_SI_Lm3ESC_lEEiii ; -- Begin function _ZN2at6native12_GLOBAL__N_131replication_pad_backward_kernelIdEEvN5torch10headeronly6detail27GenericPackedTensorAccessorINS5_14TensorAccessorIN3c108ArrayRefIlEET_Lm2ENS4_16DefaultPtrTraitsElEENS_6detail16IndexBoundsCheckILm3ElEESB_Lm3ESC_lEENS6_INS7_ISA_KSB_Lm2ESC_lEESG_SI_Lm3ESC_lEEiii
	.p2align	8
	.type	_ZN2at6native12_GLOBAL__N_131replication_pad_backward_kernelIdEEvN5torch10headeronly6detail27GenericPackedTensorAccessorINS5_14TensorAccessorIN3c108ArrayRefIlEET_Lm2ENS4_16DefaultPtrTraitsElEENS_6detail16IndexBoundsCheckILm3ElEESB_Lm3ESC_lEENS6_INS7_ISA_KSB_Lm2ESC_lEESG_SI_Lm3ESC_lEEiii,@function
_ZN2at6native12_GLOBAL__N_131replication_pad_backward_kernelIdEEvN5torch10headeronly6detail27GenericPackedTensorAccessorINS5_14TensorAccessorIN3c108ArrayRefIlEET_Lm2ENS4_16DefaultPtrTraitsElEENS_6detail16IndexBoundsCheckILm3ElEESB_Lm3ESC_lEENS6_INS7_ISA_KSB_Lm2ESC_lEESG_SI_Lm3ESC_lEEiii: ; @_ZN2at6native12_GLOBAL__N_131replication_pad_backward_kernelIdEEvN5torch10headeronly6detail27GenericPackedTensorAccessorINS5_14TensorAccessorIN3c108ArrayRefIlEET_Lm2ENS4_16DefaultPtrTraitsElEENS_6detail16IndexBoundsCheckILm3ElEESB_Lm3ESC_lEENS6_INS7_ISA_KSB_Lm2ESC_lEESG_SI_Lm3ESC_lEEiii
; %bb.0:
	s_load_dword s0, s[4:5], 0x8c
	s_load_dwordx2 s[10:11], s[4:5], 0x50
	v_mov_b32_e32 v2, 0
	v_mov_b32_e32 v1, v2
	;; [unrolled: 1-line block ×3, first 2 shown]
	s_waitcnt lgkmcnt(0)
	s_and_b32 s0, s0, 0xffff
	v_mad_u64_u32 v[0:1], s[0:1], s0, v3, v[0:1]
	v_cmp_gt_i64_e32 vcc, s[10:11], v[0:1]
	s_and_saveexec_b64 s[0:1], vcc
	s_cbranch_execz .LBB23_7
; %bb.1:
	v_or_b32_e32 v3, s11, v1
	v_cmp_ne_u64_e32 vcc, 0, v[2:3]
                                        ; implicit-def: $vgpr2_vgpr3
	s_and_saveexec_b64 s[0:1], vcc
	s_xor_b64 s[12:13], exec, s[0:1]
	s_cbranch_execz .LBB23_3
; %bb.2:
	v_cvt_f32_u32_e32 v2, s10
	v_cvt_f32_u32_e32 v3, s11
	s_sub_u32 s2, 0, s10
	s_subb_u32 s3, 0, s11
	v_madmk_f32 v2, v3, 0x4f800000, v2
	v_rcp_f32_e32 v2, v2
	v_mul_f32_e32 v2, 0x5f7ffffc, v2
	v_mul_f32_e32 v3, 0x2f800000, v2
	v_trunc_f32_e32 v3, v3
	v_madmk_f32 v2, v3, 0xcf800000, v2
	v_cvt_u32_f32_e32 v3, v3
	v_cvt_u32_f32_e32 v2, v2
	v_readfirstlane_b32 s6, v3
	v_readfirstlane_b32 s0, v2
	s_mul_i32 s1, s2, s6
	s_mul_hi_u32 s14, s2, s0
	s_mul_i32 s9, s3, s0
	s_add_i32 s1, s14, s1
	s_mul_i32 s15, s2, s0
	s_add_i32 s1, s1, s9
	s_mul_i32 s14, s0, s1
	s_mul_hi_u32 s16, s0, s15
	s_mul_hi_u32 s9, s0, s1
	s_add_u32 s14, s16, s14
	s_addc_u32 s9, 0, s9
	s_mul_hi_u32 s17, s6, s15
	s_mul_i32 s15, s6, s15
	s_add_u32 s14, s14, s15
	s_mul_hi_u32 s16, s6, s1
	s_addc_u32 s9, s9, s17
	s_addc_u32 s14, s16, 0
	s_mul_i32 s1, s6, s1
	s_add_u32 s1, s9, s1
	s_addc_u32 s9, 0, s14
	s_add_u32 s14, s0, s1
	s_cselect_b64 s[0:1], -1, 0
	s_cmp_lg_u64 s[0:1], 0
	s_addc_u32 s6, s6, s9
	s_mul_i32 s0, s2, s6
	s_mul_hi_u32 s1, s2, s14
	s_add_i32 s0, s1, s0
	s_mul_i32 s3, s3, s14
	s_add_i32 s0, s0, s3
	s_mul_i32 s2, s2, s14
	s_mul_hi_u32 s3, s6, s2
	s_mul_i32 s9, s6, s2
	s_mul_i32 s16, s14, s0
	s_mul_hi_u32 s2, s14, s2
	s_mul_hi_u32 s15, s14, s0
	s_add_u32 s2, s2, s16
	s_addc_u32 s15, 0, s15
	s_add_u32 s2, s2, s9
	s_mul_hi_u32 s1, s6, s0
	s_addc_u32 s2, s15, s3
	s_addc_u32 s1, s1, 0
	s_mul_i32 s0, s6, s0
	s_add_u32 s0, s2, s0
	s_addc_u32 s2, 0, s1
	s_add_u32 s3, s14, s0
	s_cselect_b64 s[0:1], -1, 0
	s_cmp_lg_u64 s[0:1], 0
	s_addc_u32 s2, s6, s2
	v_mad_u64_u32 v[2:3], s[0:1], v0, s2, 0
	v_mul_hi_u32 v4, v0, s3
	v_add_co_u32_e32 v6, vcc, v4, v2
	v_addc_co_u32_e32 v7, vcc, 0, v3, vcc
	v_mad_u64_u32 v[2:3], s[0:1], v1, s3, 0
	v_mad_u64_u32 v[4:5], s[0:1], v1, s2, 0
	v_add_co_u32_e32 v2, vcc, v6, v2
	v_addc_co_u32_e32 v2, vcc, v7, v3, vcc
	v_addc_co_u32_e32 v3, vcc, 0, v5, vcc
	v_add_co_u32_e32 v2, vcc, v2, v4
	v_addc_co_u32_e32 v3, vcc, 0, v3, vcc
	v_mul_lo_u32 v4, s11, v2
	v_mul_lo_u32 v5, s10, v3
	v_mad_u64_u32 v[2:3], s[0:1], s10, v2, 0
	v_add3_u32 v3, v3, v5, v4
	v_sub_u32_e32 v4, v1, v3
	v_mov_b32_e32 v5, s11
	v_sub_co_u32_e32 v0, vcc, v0, v2
	v_subb_co_u32_e64 v2, s[0:1], v4, v5, vcc
	v_subrev_co_u32_e64 v4, s[0:1], s10, v0
	v_subbrev_co_u32_e64 v6, s[2:3], 0, v2, s[0:1]
	v_cmp_le_u32_e64 s[2:3], s11, v6
	v_cndmask_b32_e64 v7, 0, -1, s[2:3]
	v_cmp_le_u32_e64 s[2:3], s10, v4
	v_subb_co_u32_e64 v2, s[0:1], v2, v5, s[0:1]
	v_cndmask_b32_e64 v8, 0, -1, s[2:3]
	v_cmp_eq_u32_e64 s[2:3], s11, v6
	v_subrev_co_u32_e64 v5, s[0:1], s10, v4
	v_subb_co_u32_e32 v1, vcc, v1, v3, vcc
	v_cndmask_b32_e64 v7, v7, v8, s[2:3]
	v_subbrev_co_u32_e64 v2, s[0:1], 0, v2, s[0:1]
	v_cmp_le_u32_e32 vcc, s11, v1
	v_cmp_ne_u32_e64 s[0:1], 0, v7
	v_cndmask_b32_e64 v3, 0, -1, vcc
	v_cmp_le_u32_e32 vcc, s10, v0
	v_cndmask_b32_e64 v2, v6, v2, s[0:1]
	v_cndmask_b32_e64 v6, 0, -1, vcc
	v_cmp_eq_u32_e32 vcc, s11, v1
	v_cndmask_b32_e32 v3, v3, v6, vcc
	v_cmp_ne_u32_e32 vcc, 0, v3
	v_cndmask_b32_e32 v3, v1, v2, vcc
	v_cndmask_b32_e64 v1, v4, v5, s[0:1]
	v_cndmask_b32_e32 v2, v0, v1, vcc
                                        ; implicit-def: $vgpr0_vgpr1
.LBB23_3:
	s_andn2_saveexec_b64 s[0:1], s[12:13]
	s_cbranch_execz .LBB23_5
; %bb.4:
	v_cvt_f32_u32_e32 v1, s10
	s_sub_i32 s2, 0, s10
	v_mov_b32_e32 v3, 0
	v_rcp_iflag_f32_e32 v1, v1
	v_mul_f32_e32 v1, 0x4f7ffffe, v1
	v_cvt_u32_f32_e32 v1, v1
	v_mul_lo_u32 v2, s2, v1
	v_mul_hi_u32 v2, v1, v2
	v_add_u32_e32 v1, v1, v2
	v_mul_hi_u32 v1, v0, v1
	v_mul_lo_u32 v1, v1, s10
	v_sub_u32_e32 v0, v0, v1
	v_subrev_u32_e32 v1, s10, v0
	v_cmp_le_u32_e32 vcc, s10, v0
	v_cndmask_b32_e32 v0, v0, v1, vcc
	v_subrev_u32_e32 v1, s10, v0
	v_cmp_le_u32_e32 vcc, s10, v0
	v_cndmask_b32_e32 v2, v0, v1, vcc
.LBB23_5:
	s_or_b64 exec, exec, s[0:1]
	s_load_dwordx4 s[0:3], s[4:5], 0x70
	s_load_dwordx8 s[12:19], s[4:5], 0x18
	s_load_dwordx2 s[10:11], s[4:5], 0x68
	s_waitcnt lgkmcnt(0)
	s_add_i32 s20, s1, s7
	s_sub_i32 s1, 0, s0
	s_add_i32 s13, s2, s8
	s_max_i32 s21, s1, 0
	s_max_i32 s22, s0, 0
	v_max_i32_e32 v0, s0, v2
	s_add_i32 s12, s0, s12
	s_load_dwordx2 s[8:9], s[4:5], 0x38
	s_load_dwordx4 s[0:3], s[4:5], 0x58
	s_add_i32 s12, s12, -1
	s_load_dwordx2 s[6:7], s[4:5], 0x0
	v_min_i32_e32 v0, s12, v0
	s_sub_i32 s4, s21, s22
	v_add_u32_e32 v6, s4, v0
	s_waitcnt lgkmcnt(0)
	s_mul_i32 s1, s1, s13
	s_mul_hi_u32 s4, s0, s13
	s_add_i32 s1, s4, s1
	s_mul_i32 s0, s0, s13
	s_lshl_b64 s[0:1], s[0:1], 3
	s_add_u32 s4, s8, s0
	s_addc_u32 s5, s9, s1
	s_mul_i32 s0, s3, s20
	s_mul_hi_u32 s1, s2, s20
	s_add_i32 s1, s1, s0
	s_mul_i32 s0, s2, s20
	v_mul_lo_u32 v4, s11, v2
	v_mul_lo_u32 v3, s10, v3
	v_mad_u64_u32 v[0:1], s[2:3], s10, v2, 0
	s_lshl_b64 s[0:1], s[0:1], 3
	s_add_u32 s0, s4, s0
	v_add3_u32 v1, v1, v3, v4
	v_lshlrev_b64 v[0:1], 3, v[0:1]
	s_addc_u32 s1, s5, s1
	v_mov_b32_e32 v2, s1
	v_add_co_u32_e32 v0, vcc, s0, v0
	v_addc_co_u32_e32 v1, vcc, v2, v1, vcc
	s_mul_i32 s0, s15, s13
	s_mul_hi_u32 s1, s14, s13
	global_load_dwordx2 v[4:5], v[0:1], off
	s_add_i32 s1, s1, s0
	s_mul_i32 s0, s14, s13
	v_ashrrev_i32_e32 v0, 31, v6
	s_lshl_b64 s[0:1], s[0:1], 3
	v_mul_lo_u32 v2, s18, v0
	v_mul_lo_u32 v3, s19, v6
	v_mad_u64_u32 v[0:1], s[2:3], s18, v6, 0
	s_add_u32 s4, s6, s0
	s_addc_u32 s5, s7, s1
	s_mul_i32 s0, s17, s20
	s_mul_hi_u32 s1, s16, s20
	s_add_i32 s1, s1, s0
	s_mul_i32 s0, s16, s20
	s_lshl_b64 s[0:1], s[0:1], 3
	v_add3_u32 v1, v1, v2, v3
	s_add_u32 s0, s4, s0
	v_lshlrev_b64 v[0:1], 3, v[0:1]
	s_addc_u32 s1, s5, s1
	v_mov_b32_e32 v2, s1
	v_add_co_u32_e32 v6, vcc, s0, v0
	v_addc_co_u32_e32 v7, vcc, v2, v1, vcc
	global_load_dwordx2 v[2:3], v[6:7], off
	s_mov_b64 s[0:1], 0
.LBB23_6:                               ; =>This Inner Loop Header: Depth=1
	s_waitcnt vmcnt(0)
	v_add_f64 v[0:1], v[2:3], v[4:5]
	global_atomic_cmpswap_x2 v[0:1], v[6:7], v[0:3], off glc
	s_waitcnt vmcnt(0)
	v_cmp_eq_u64_e32 vcc, v[0:1], v[2:3]
	v_mov_b32_e32 v3, v1
	s_or_b64 s[0:1], vcc, s[0:1]
	v_mov_b32_e32 v2, v0
	s_andn2_b64 exec, exec, s[0:1]
	s_cbranch_execnz .LBB23_6
.LBB23_7:
	s_endpgm
	.section	.rodata,"a",@progbits
	.p2align	6, 0x0
	.amdhsa_kernel _ZN2at6native12_GLOBAL__N_131replication_pad_backward_kernelIdEEvN5torch10headeronly6detail27GenericPackedTensorAccessorINS5_14TensorAccessorIN3c108ArrayRefIlEET_Lm2ENS4_16DefaultPtrTraitsElEENS_6detail16IndexBoundsCheckILm3ElEESB_Lm3ESC_lEENS6_INS7_ISA_KSB_Lm2ESC_lEESG_SI_Lm3ESC_lEEiii
		.amdhsa_group_segment_fixed_size 0
		.amdhsa_private_segment_fixed_size 0
		.amdhsa_kernarg_size 384
		.amdhsa_user_sgpr_count 6
		.amdhsa_user_sgpr_private_segment_buffer 1
		.amdhsa_user_sgpr_dispatch_ptr 0
		.amdhsa_user_sgpr_queue_ptr 0
		.amdhsa_user_sgpr_kernarg_segment_ptr 1
		.amdhsa_user_sgpr_dispatch_id 0
		.amdhsa_user_sgpr_flat_scratch_init 0
		.amdhsa_user_sgpr_private_segment_size 0
		.amdhsa_uses_dynamic_stack 0
		.amdhsa_system_sgpr_private_segment_wavefront_offset 0
		.amdhsa_system_sgpr_workgroup_id_x 1
		.amdhsa_system_sgpr_workgroup_id_y 1
		.amdhsa_system_sgpr_workgroup_id_z 1
		.amdhsa_system_sgpr_workgroup_info 0
		.amdhsa_system_vgpr_workitem_id 0
		.amdhsa_next_free_vgpr 9
		.amdhsa_next_free_sgpr 23
		.amdhsa_reserve_vcc 1
		.amdhsa_reserve_flat_scratch 0
		.amdhsa_float_round_mode_32 0
		.amdhsa_float_round_mode_16_64 0
		.amdhsa_float_denorm_mode_32 3
		.amdhsa_float_denorm_mode_16_64 3
		.amdhsa_dx10_clamp 1
		.amdhsa_ieee_mode 1
		.amdhsa_fp16_overflow 0
		.amdhsa_exception_fp_ieee_invalid_op 0
		.amdhsa_exception_fp_denorm_src 0
		.amdhsa_exception_fp_ieee_div_zero 0
		.amdhsa_exception_fp_ieee_overflow 0
		.amdhsa_exception_fp_ieee_underflow 0
		.amdhsa_exception_fp_ieee_inexact 0
		.amdhsa_exception_int_div_zero 0
	.end_amdhsa_kernel
	.section	.text._ZN2at6native12_GLOBAL__N_131replication_pad_backward_kernelIdEEvN5torch10headeronly6detail27GenericPackedTensorAccessorINS5_14TensorAccessorIN3c108ArrayRefIlEET_Lm2ENS4_16DefaultPtrTraitsElEENS_6detail16IndexBoundsCheckILm3ElEESB_Lm3ESC_lEENS6_INS7_ISA_KSB_Lm2ESC_lEESG_SI_Lm3ESC_lEEiii,"axG",@progbits,_ZN2at6native12_GLOBAL__N_131replication_pad_backward_kernelIdEEvN5torch10headeronly6detail27GenericPackedTensorAccessorINS5_14TensorAccessorIN3c108ArrayRefIlEET_Lm2ENS4_16DefaultPtrTraitsElEENS_6detail16IndexBoundsCheckILm3ElEESB_Lm3ESC_lEENS6_INS7_ISA_KSB_Lm2ESC_lEESG_SI_Lm3ESC_lEEiii,comdat
.Lfunc_end23:
	.size	_ZN2at6native12_GLOBAL__N_131replication_pad_backward_kernelIdEEvN5torch10headeronly6detail27GenericPackedTensorAccessorINS5_14TensorAccessorIN3c108ArrayRefIlEET_Lm2ENS4_16DefaultPtrTraitsElEENS_6detail16IndexBoundsCheckILm3ElEESB_Lm3ESC_lEENS6_INS7_ISA_KSB_Lm2ESC_lEESG_SI_Lm3ESC_lEEiii, .Lfunc_end23-_ZN2at6native12_GLOBAL__N_131replication_pad_backward_kernelIdEEvN5torch10headeronly6detail27GenericPackedTensorAccessorINS5_14TensorAccessorIN3c108ArrayRefIlEET_Lm2ENS4_16DefaultPtrTraitsElEENS_6detail16IndexBoundsCheckILm3ElEESB_Lm3ESC_lEENS6_INS7_ISA_KSB_Lm2ESC_lEESG_SI_Lm3ESC_lEEiii
                                        ; -- End function
	.set _ZN2at6native12_GLOBAL__N_131replication_pad_backward_kernelIdEEvN5torch10headeronly6detail27GenericPackedTensorAccessorINS5_14TensorAccessorIN3c108ArrayRefIlEET_Lm2ENS4_16DefaultPtrTraitsElEENS_6detail16IndexBoundsCheckILm3ElEESB_Lm3ESC_lEENS6_INS7_ISA_KSB_Lm2ESC_lEESG_SI_Lm3ESC_lEEiii.num_vgpr, 9
	.set _ZN2at6native12_GLOBAL__N_131replication_pad_backward_kernelIdEEvN5torch10headeronly6detail27GenericPackedTensorAccessorINS5_14TensorAccessorIN3c108ArrayRefIlEET_Lm2ENS4_16DefaultPtrTraitsElEENS_6detail16IndexBoundsCheckILm3ElEESB_Lm3ESC_lEENS6_INS7_ISA_KSB_Lm2ESC_lEESG_SI_Lm3ESC_lEEiii.num_agpr, 0
	.set _ZN2at6native12_GLOBAL__N_131replication_pad_backward_kernelIdEEvN5torch10headeronly6detail27GenericPackedTensorAccessorINS5_14TensorAccessorIN3c108ArrayRefIlEET_Lm2ENS4_16DefaultPtrTraitsElEENS_6detail16IndexBoundsCheckILm3ElEESB_Lm3ESC_lEENS6_INS7_ISA_KSB_Lm2ESC_lEESG_SI_Lm3ESC_lEEiii.numbered_sgpr, 23
	.set _ZN2at6native12_GLOBAL__N_131replication_pad_backward_kernelIdEEvN5torch10headeronly6detail27GenericPackedTensorAccessorINS5_14TensorAccessorIN3c108ArrayRefIlEET_Lm2ENS4_16DefaultPtrTraitsElEENS_6detail16IndexBoundsCheckILm3ElEESB_Lm3ESC_lEENS6_INS7_ISA_KSB_Lm2ESC_lEESG_SI_Lm3ESC_lEEiii.num_named_barrier, 0
	.set _ZN2at6native12_GLOBAL__N_131replication_pad_backward_kernelIdEEvN5torch10headeronly6detail27GenericPackedTensorAccessorINS5_14TensorAccessorIN3c108ArrayRefIlEET_Lm2ENS4_16DefaultPtrTraitsElEENS_6detail16IndexBoundsCheckILm3ElEESB_Lm3ESC_lEENS6_INS7_ISA_KSB_Lm2ESC_lEESG_SI_Lm3ESC_lEEiii.private_seg_size, 0
	.set _ZN2at6native12_GLOBAL__N_131replication_pad_backward_kernelIdEEvN5torch10headeronly6detail27GenericPackedTensorAccessorINS5_14TensorAccessorIN3c108ArrayRefIlEET_Lm2ENS4_16DefaultPtrTraitsElEENS_6detail16IndexBoundsCheckILm3ElEESB_Lm3ESC_lEENS6_INS7_ISA_KSB_Lm2ESC_lEESG_SI_Lm3ESC_lEEiii.uses_vcc, 1
	.set _ZN2at6native12_GLOBAL__N_131replication_pad_backward_kernelIdEEvN5torch10headeronly6detail27GenericPackedTensorAccessorINS5_14TensorAccessorIN3c108ArrayRefIlEET_Lm2ENS4_16DefaultPtrTraitsElEENS_6detail16IndexBoundsCheckILm3ElEESB_Lm3ESC_lEENS6_INS7_ISA_KSB_Lm2ESC_lEESG_SI_Lm3ESC_lEEiii.uses_flat_scratch, 0
	.set _ZN2at6native12_GLOBAL__N_131replication_pad_backward_kernelIdEEvN5torch10headeronly6detail27GenericPackedTensorAccessorINS5_14TensorAccessorIN3c108ArrayRefIlEET_Lm2ENS4_16DefaultPtrTraitsElEENS_6detail16IndexBoundsCheckILm3ElEESB_Lm3ESC_lEENS6_INS7_ISA_KSB_Lm2ESC_lEESG_SI_Lm3ESC_lEEiii.has_dyn_sized_stack, 0
	.set _ZN2at6native12_GLOBAL__N_131replication_pad_backward_kernelIdEEvN5torch10headeronly6detail27GenericPackedTensorAccessorINS5_14TensorAccessorIN3c108ArrayRefIlEET_Lm2ENS4_16DefaultPtrTraitsElEENS_6detail16IndexBoundsCheckILm3ElEESB_Lm3ESC_lEENS6_INS7_ISA_KSB_Lm2ESC_lEESG_SI_Lm3ESC_lEEiii.has_recursion, 0
	.set _ZN2at6native12_GLOBAL__N_131replication_pad_backward_kernelIdEEvN5torch10headeronly6detail27GenericPackedTensorAccessorINS5_14TensorAccessorIN3c108ArrayRefIlEET_Lm2ENS4_16DefaultPtrTraitsElEENS_6detail16IndexBoundsCheckILm3ElEESB_Lm3ESC_lEENS6_INS7_ISA_KSB_Lm2ESC_lEESG_SI_Lm3ESC_lEEiii.has_indirect_call, 0
	.section	.AMDGPU.csdata,"",@progbits
; Kernel info:
; codeLenInByte = 1120
; TotalNumSgprs: 27
; NumVgprs: 9
; ScratchSize: 0
; MemoryBound: 0
; FloatMode: 240
; IeeeMode: 1
; LDSByteSize: 0 bytes/workgroup (compile time only)
; SGPRBlocks: 3
; VGPRBlocks: 2
; NumSGPRsForWavesPerEU: 27
; NumVGPRsForWavesPerEU: 9
; Occupancy: 10
; WaveLimiterHint : 1
; COMPUTE_PGM_RSRC2:SCRATCH_EN: 0
; COMPUTE_PGM_RSRC2:USER_SGPR: 6
; COMPUTE_PGM_RSRC2:TRAP_HANDLER: 0
; COMPUTE_PGM_RSRC2:TGID_X_EN: 1
; COMPUTE_PGM_RSRC2:TGID_Y_EN: 1
; COMPUTE_PGM_RSRC2:TGID_Z_EN: 1
; COMPUTE_PGM_RSRC2:TIDIG_COMP_CNT: 0
	.section	.text._ZN2at6native12_GLOBAL__N_131replication_pad_backward_kernelIfEEvN5torch10headeronly6detail27GenericPackedTensorAccessorINS5_14TensorAccessorIN3c108ArrayRefIlEET_Lm2ENS4_16DefaultPtrTraitsElEENS_6detail16IndexBoundsCheckILm3ElEESB_Lm3ESC_lEENS6_INS7_ISA_KSB_Lm2ESC_lEESG_SI_Lm3ESC_lEEiii,"axG",@progbits,_ZN2at6native12_GLOBAL__N_131replication_pad_backward_kernelIfEEvN5torch10headeronly6detail27GenericPackedTensorAccessorINS5_14TensorAccessorIN3c108ArrayRefIlEET_Lm2ENS4_16DefaultPtrTraitsElEENS_6detail16IndexBoundsCheckILm3ElEESB_Lm3ESC_lEENS6_INS7_ISA_KSB_Lm2ESC_lEESG_SI_Lm3ESC_lEEiii,comdat
	.globl	_ZN2at6native12_GLOBAL__N_131replication_pad_backward_kernelIfEEvN5torch10headeronly6detail27GenericPackedTensorAccessorINS5_14TensorAccessorIN3c108ArrayRefIlEET_Lm2ENS4_16DefaultPtrTraitsElEENS_6detail16IndexBoundsCheckILm3ElEESB_Lm3ESC_lEENS6_INS7_ISA_KSB_Lm2ESC_lEESG_SI_Lm3ESC_lEEiii ; -- Begin function _ZN2at6native12_GLOBAL__N_131replication_pad_backward_kernelIfEEvN5torch10headeronly6detail27GenericPackedTensorAccessorINS5_14TensorAccessorIN3c108ArrayRefIlEET_Lm2ENS4_16DefaultPtrTraitsElEENS_6detail16IndexBoundsCheckILm3ElEESB_Lm3ESC_lEENS6_INS7_ISA_KSB_Lm2ESC_lEESG_SI_Lm3ESC_lEEiii
	.p2align	8
	.type	_ZN2at6native12_GLOBAL__N_131replication_pad_backward_kernelIfEEvN5torch10headeronly6detail27GenericPackedTensorAccessorINS5_14TensorAccessorIN3c108ArrayRefIlEET_Lm2ENS4_16DefaultPtrTraitsElEENS_6detail16IndexBoundsCheckILm3ElEESB_Lm3ESC_lEENS6_INS7_ISA_KSB_Lm2ESC_lEESG_SI_Lm3ESC_lEEiii,@function
_ZN2at6native12_GLOBAL__N_131replication_pad_backward_kernelIfEEvN5torch10headeronly6detail27GenericPackedTensorAccessorINS5_14TensorAccessorIN3c108ArrayRefIlEET_Lm2ENS4_16DefaultPtrTraitsElEENS_6detail16IndexBoundsCheckILm3ElEESB_Lm3ESC_lEENS6_INS7_ISA_KSB_Lm2ESC_lEESG_SI_Lm3ESC_lEEiii: ; @_ZN2at6native12_GLOBAL__N_131replication_pad_backward_kernelIfEEvN5torch10headeronly6detail27GenericPackedTensorAccessorINS5_14TensorAccessorIN3c108ArrayRefIlEET_Lm2ENS4_16DefaultPtrTraitsElEENS_6detail16IndexBoundsCheckILm3ElEESB_Lm3ESC_lEENS6_INS7_ISA_KSB_Lm2ESC_lEESG_SI_Lm3ESC_lEEiii
; %bb.0:
	s_load_dword s0, s[4:5], 0x8c
	s_load_dwordx2 s[10:11], s[4:5], 0x50
	v_mov_b32_e32 v2, 0
	v_mov_b32_e32 v1, v2
	;; [unrolled: 1-line block ×3, first 2 shown]
	s_waitcnt lgkmcnt(0)
	s_and_b32 s0, s0, 0xffff
	v_mad_u64_u32 v[0:1], s[0:1], s0, v3, v[0:1]
	v_cmp_gt_i64_e32 vcc, s[10:11], v[0:1]
	s_and_saveexec_b64 s[0:1], vcc
	s_cbranch_execz .LBB24_7
; %bb.1:
	v_or_b32_e32 v3, s11, v1
	v_cmp_ne_u64_e32 vcc, 0, v[2:3]
                                        ; implicit-def: $vgpr2_vgpr3
	s_and_saveexec_b64 s[0:1], vcc
	s_xor_b64 s[12:13], exec, s[0:1]
	s_cbranch_execz .LBB24_3
; %bb.2:
	v_cvt_f32_u32_e32 v2, s10
	v_cvt_f32_u32_e32 v3, s11
	s_sub_u32 s2, 0, s10
	s_subb_u32 s3, 0, s11
	v_madmk_f32 v2, v3, 0x4f800000, v2
	v_rcp_f32_e32 v2, v2
	v_mul_f32_e32 v2, 0x5f7ffffc, v2
	v_mul_f32_e32 v3, 0x2f800000, v2
	v_trunc_f32_e32 v3, v3
	v_madmk_f32 v2, v3, 0xcf800000, v2
	v_cvt_u32_f32_e32 v3, v3
	v_cvt_u32_f32_e32 v2, v2
	v_readfirstlane_b32 s6, v3
	v_readfirstlane_b32 s0, v2
	s_mul_i32 s1, s2, s6
	s_mul_hi_u32 s14, s2, s0
	s_mul_i32 s9, s3, s0
	s_add_i32 s1, s14, s1
	s_mul_i32 s15, s2, s0
	s_add_i32 s1, s1, s9
	s_mul_i32 s14, s0, s1
	s_mul_hi_u32 s16, s0, s15
	s_mul_hi_u32 s9, s0, s1
	s_add_u32 s14, s16, s14
	s_addc_u32 s9, 0, s9
	s_mul_hi_u32 s17, s6, s15
	s_mul_i32 s15, s6, s15
	s_add_u32 s14, s14, s15
	s_mul_hi_u32 s16, s6, s1
	s_addc_u32 s9, s9, s17
	s_addc_u32 s14, s16, 0
	s_mul_i32 s1, s6, s1
	s_add_u32 s1, s9, s1
	s_addc_u32 s9, 0, s14
	s_add_u32 s14, s0, s1
	s_cselect_b64 s[0:1], -1, 0
	s_cmp_lg_u64 s[0:1], 0
	s_addc_u32 s6, s6, s9
	s_mul_i32 s0, s2, s6
	s_mul_hi_u32 s1, s2, s14
	s_add_i32 s0, s1, s0
	s_mul_i32 s3, s3, s14
	s_add_i32 s0, s0, s3
	s_mul_i32 s2, s2, s14
	s_mul_hi_u32 s3, s6, s2
	s_mul_i32 s9, s6, s2
	s_mul_i32 s16, s14, s0
	s_mul_hi_u32 s2, s14, s2
	s_mul_hi_u32 s15, s14, s0
	s_add_u32 s2, s2, s16
	s_addc_u32 s15, 0, s15
	s_add_u32 s2, s2, s9
	s_mul_hi_u32 s1, s6, s0
	s_addc_u32 s2, s15, s3
	s_addc_u32 s1, s1, 0
	s_mul_i32 s0, s6, s0
	s_add_u32 s0, s2, s0
	s_addc_u32 s2, 0, s1
	s_add_u32 s3, s14, s0
	s_cselect_b64 s[0:1], -1, 0
	s_cmp_lg_u64 s[0:1], 0
	s_addc_u32 s2, s6, s2
	v_mad_u64_u32 v[2:3], s[0:1], v0, s2, 0
	v_mul_hi_u32 v4, v0, s3
	v_add_co_u32_e32 v6, vcc, v4, v2
	v_addc_co_u32_e32 v7, vcc, 0, v3, vcc
	v_mad_u64_u32 v[2:3], s[0:1], v1, s3, 0
	v_mad_u64_u32 v[4:5], s[0:1], v1, s2, 0
	v_add_co_u32_e32 v2, vcc, v6, v2
	v_addc_co_u32_e32 v2, vcc, v7, v3, vcc
	v_addc_co_u32_e32 v3, vcc, 0, v5, vcc
	v_add_co_u32_e32 v2, vcc, v2, v4
	v_addc_co_u32_e32 v3, vcc, 0, v3, vcc
	v_mul_lo_u32 v4, s11, v2
	v_mul_lo_u32 v5, s10, v3
	v_mad_u64_u32 v[2:3], s[0:1], s10, v2, 0
	v_add3_u32 v3, v3, v5, v4
	v_sub_u32_e32 v4, v1, v3
	v_mov_b32_e32 v5, s11
	v_sub_co_u32_e32 v0, vcc, v0, v2
	v_subb_co_u32_e64 v2, s[0:1], v4, v5, vcc
	v_subrev_co_u32_e64 v4, s[0:1], s10, v0
	v_subbrev_co_u32_e64 v6, s[2:3], 0, v2, s[0:1]
	v_cmp_le_u32_e64 s[2:3], s11, v6
	v_cndmask_b32_e64 v7, 0, -1, s[2:3]
	v_cmp_le_u32_e64 s[2:3], s10, v4
	v_subb_co_u32_e64 v2, s[0:1], v2, v5, s[0:1]
	v_cndmask_b32_e64 v8, 0, -1, s[2:3]
	v_cmp_eq_u32_e64 s[2:3], s11, v6
	v_subrev_co_u32_e64 v5, s[0:1], s10, v4
	v_subb_co_u32_e32 v1, vcc, v1, v3, vcc
	v_cndmask_b32_e64 v7, v7, v8, s[2:3]
	v_subbrev_co_u32_e64 v2, s[0:1], 0, v2, s[0:1]
	v_cmp_le_u32_e32 vcc, s11, v1
	v_cmp_ne_u32_e64 s[0:1], 0, v7
	v_cndmask_b32_e64 v3, 0, -1, vcc
	v_cmp_le_u32_e32 vcc, s10, v0
	v_cndmask_b32_e64 v2, v6, v2, s[0:1]
	v_cndmask_b32_e64 v6, 0, -1, vcc
	v_cmp_eq_u32_e32 vcc, s11, v1
	v_cndmask_b32_e32 v3, v3, v6, vcc
	v_cmp_ne_u32_e32 vcc, 0, v3
	v_cndmask_b32_e32 v3, v1, v2, vcc
	v_cndmask_b32_e64 v1, v4, v5, s[0:1]
	v_cndmask_b32_e32 v2, v0, v1, vcc
                                        ; implicit-def: $vgpr0_vgpr1
.LBB24_3:
	s_andn2_saveexec_b64 s[0:1], s[12:13]
	s_cbranch_execz .LBB24_5
; %bb.4:
	v_cvt_f32_u32_e32 v1, s10
	s_sub_i32 s2, 0, s10
	v_mov_b32_e32 v3, 0
	v_rcp_iflag_f32_e32 v1, v1
	v_mul_f32_e32 v1, 0x4f7ffffe, v1
	v_cvt_u32_f32_e32 v1, v1
	v_mul_lo_u32 v2, s2, v1
	v_mul_hi_u32 v2, v1, v2
	v_add_u32_e32 v1, v1, v2
	v_mul_hi_u32 v1, v0, v1
	v_mul_lo_u32 v1, v1, s10
	v_sub_u32_e32 v0, v0, v1
	v_subrev_u32_e32 v1, s10, v0
	v_cmp_le_u32_e32 vcc, s10, v0
	v_cndmask_b32_e32 v0, v0, v1, vcc
	v_subrev_u32_e32 v1, s10, v0
	v_cmp_le_u32_e32 vcc, s10, v0
	v_cndmask_b32_e32 v2, v0, v1, vcc
.LBB24_5:
	s_or_b64 exec, exec, s[0:1]
	s_load_dwordx4 s[0:3], s[4:5], 0x70
	s_load_dwordx8 s[12:19], s[4:5], 0x18
	s_load_dwordx2 s[10:11], s[4:5], 0x68
	s_waitcnt lgkmcnt(0)
	s_add_i32 s20, s1, s7
	s_sub_i32 s1, 0, s0
	s_add_i32 s13, s2, s8
	s_max_i32 s21, s1, 0
	s_max_i32 s22, s0, 0
	v_max_i32_e32 v0, s0, v2
	s_add_i32 s12, s0, s12
	s_load_dwordx2 s[8:9], s[4:5], 0x38
	s_load_dwordx4 s[0:3], s[4:5], 0x58
	s_add_i32 s12, s12, -1
	s_load_dwordx2 s[6:7], s[4:5], 0x0
	v_min_i32_e32 v0, s12, v0
	s_sub_i32 s4, s21, s22
	v_add_u32_e32 v5, s4, v0
	s_waitcnt lgkmcnt(0)
	s_mul_i32 s1, s1, s13
	s_mul_hi_u32 s4, s0, s13
	s_add_i32 s1, s4, s1
	s_mul_i32 s0, s0, s13
	s_lshl_b64 s[0:1], s[0:1], 2
	s_add_u32 s4, s8, s0
	s_addc_u32 s5, s9, s1
	s_mul_i32 s0, s3, s20
	s_mul_hi_u32 s1, s2, s20
	s_add_i32 s1, s1, s0
	s_mul_i32 s0, s2, s20
	v_mul_lo_u32 v4, s11, v2
	v_mul_lo_u32 v3, s10, v3
	v_mad_u64_u32 v[0:1], s[2:3], s10, v2, 0
	s_lshl_b64 s[0:1], s[0:1], 2
	s_add_u32 s0, s4, s0
	v_add3_u32 v1, v1, v3, v4
	v_lshlrev_b64 v[0:1], 2, v[0:1]
	s_addc_u32 s1, s5, s1
	v_mov_b32_e32 v2, s1
	v_add_co_u32_e32 v0, vcc, s0, v0
	v_addc_co_u32_e32 v1, vcc, v2, v1, vcc
	s_mul_i32 s0, s15, s13
	s_mul_hi_u32 s1, s14, s13
	global_load_dword v4, v[0:1], off
	s_add_i32 s1, s1, s0
	s_mul_i32 s0, s14, s13
	v_ashrrev_i32_e32 v0, 31, v5
	s_lshl_b64 s[0:1], s[0:1], 2
	v_mul_lo_u32 v2, s18, v0
	v_mul_lo_u32 v3, s19, v5
	v_mad_u64_u32 v[0:1], s[2:3], s18, v5, 0
	s_add_u32 s4, s6, s0
	s_addc_u32 s5, s7, s1
	s_mul_i32 s0, s17, s20
	s_mul_hi_u32 s1, s16, s20
	s_add_i32 s1, s1, s0
	s_mul_i32 s0, s16, s20
	s_lshl_b64 s[0:1], s[0:1], 2
	v_add3_u32 v1, v1, v2, v3
	s_add_u32 s0, s4, s0
	v_lshlrev_b64 v[0:1], 2, v[0:1]
	s_addc_u32 s1, s5, s1
	v_mov_b32_e32 v2, s1
	v_add_co_u32_e32 v0, vcc, s0, v0
	v_addc_co_u32_e32 v1, vcc, v2, v1, vcc
	global_load_dword v3, v[0:1], off
	s_mov_b64 s[0:1], 0
.LBB24_6:                               ; =>This Inner Loop Header: Depth=1
	s_waitcnt vmcnt(0)
	v_add_f32_e32 v2, v3, v4
	global_atomic_cmpswap v2, v[0:1], v[2:3], off glc
	s_waitcnt vmcnt(0)
	v_cmp_eq_u32_e32 vcc, v2, v3
	s_or_b64 s[0:1], vcc, s[0:1]
	v_mov_b32_e32 v3, v2
	s_andn2_b64 exec, exec, s[0:1]
	s_cbranch_execnz .LBB24_6
.LBB24_7:
	s_endpgm
	.section	.rodata,"a",@progbits
	.p2align	6, 0x0
	.amdhsa_kernel _ZN2at6native12_GLOBAL__N_131replication_pad_backward_kernelIfEEvN5torch10headeronly6detail27GenericPackedTensorAccessorINS5_14TensorAccessorIN3c108ArrayRefIlEET_Lm2ENS4_16DefaultPtrTraitsElEENS_6detail16IndexBoundsCheckILm3ElEESB_Lm3ESC_lEENS6_INS7_ISA_KSB_Lm2ESC_lEESG_SI_Lm3ESC_lEEiii
		.amdhsa_group_segment_fixed_size 0
		.amdhsa_private_segment_fixed_size 0
		.amdhsa_kernarg_size 384
		.amdhsa_user_sgpr_count 6
		.amdhsa_user_sgpr_private_segment_buffer 1
		.amdhsa_user_sgpr_dispatch_ptr 0
		.amdhsa_user_sgpr_queue_ptr 0
		.amdhsa_user_sgpr_kernarg_segment_ptr 1
		.amdhsa_user_sgpr_dispatch_id 0
		.amdhsa_user_sgpr_flat_scratch_init 0
		.amdhsa_user_sgpr_private_segment_size 0
		.amdhsa_uses_dynamic_stack 0
		.amdhsa_system_sgpr_private_segment_wavefront_offset 0
		.amdhsa_system_sgpr_workgroup_id_x 1
		.amdhsa_system_sgpr_workgroup_id_y 1
		.amdhsa_system_sgpr_workgroup_id_z 1
		.amdhsa_system_sgpr_workgroup_info 0
		.amdhsa_system_vgpr_workitem_id 0
		.amdhsa_next_free_vgpr 9
		.amdhsa_next_free_sgpr 23
		.amdhsa_reserve_vcc 1
		.amdhsa_reserve_flat_scratch 0
		.amdhsa_float_round_mode_32 0
		.amdhsa_float_round_mode_16_64 0
		.amdhsa_float_denorm_mode_32 3
		.amdhsa_float_denorm_mode_16_64 3
		.amdhsa_dx10_clamp 1
		.amdhsa_ieee_mode 1
		.amdhsa_fp16_overflow 0
		.amdhsa_exception_fp_ieee_invalid_op 0
		.amdhsa_exception_fp_denorm_src 0
		.amdhsa_exception_fp_ieee_div_zero 0
		.amdhsa_exception_fp_ieee_overflow 0
		.amdhsa_exception_fp_ieee_underflow 0
		.amdhsa_exception_fp_ieee_inexact 0
		.amdhsa_exception_int_div_zero 0
	.end_amdhsa_kernel
	.section	.text._ZN2at6native12_GLOBAL__N_131replication_pad_backward_kernelIfEEvN5torch10headeronly6detail27GenericPackedTensorAccessorINS5_14TensorAccessorIN3c108ArrayRefIlEET_Lm2ENS4_16DefaultPtrTraitsElEENS_6detail16IndexBoundsCheckILm3ElEESB_Lm3ESC_lEENS6_INS7_ISA_KSB_Lm2ESC_lEESG_SI_Lm3ESC_lEEiii,"axG",@progbits,_ZN2at6native12_GLOBAL__N_131replication_pad_backward_kernelIfEEvN5torch10headeronly6detail27GenericPackedTensorAccessorINS5_14TensorAccessorIN3c108ArrayRefIlEET_Lm2ENS4_16DefaultPtrTraitsElEENS_6detail16IndexBoundsCheckILm3ElEESB_Lm3ESC_lEENS6_INS7_ISA_KSB_Lm2ESC_lEESG_SI_Lm3ESC_lEEiii,comdat
.Lfunc_end24:
	.size	_ZN2at6native12_GLOBAL__N_131replication_pad_backward_kernelIfEEvN5torch10headeronly6detail27GenericPackedTensorAccessorINS5_14TensorAccessorIN3c108ArrayRefIlEET_Lm2ENS4_16DefaultPtrTraitsElEENS_6detail16IndexBoundsCheckILm3ElEESB_Lm3ESC_lEENS6_INS7_ISA_KSB_Lm2ESC_lEESG_SI_Lm3ESC_lEEiii, .Lfunc_end24-_ZN2at6native12_GLOBAL__N_131replication_pad_backward_kernelIfEEvN5torch10headeronly6detail27GenericPackedTensorAccessorINS5_14TensorAccessorIN3c108ArrayRefIlEET_Lm2ENS4_16DefaultPtrTraitsElEENS_6detail16IndexBoundsCheckILm3ElEESB_Lm3ESC_lEENS6_INS7_ISA_KSB_Lm2ESC_lEESG_SI_Lm3ESC_lEEiii
                                        ; -- End function
	.set _ZN2at6native12_GLOBAL__N_131replication_pad_backward_kernelIfEEvN5torch10headeronly6detail27GenericPackedTensorAccessorINS5_14TensorAccessorIN3c108ArrayRefIlEET_Lm2ENS4_16DefaultPtrTraitsElEENS_6detail16IndexBoundsCheckILm3ElEESB_Lm3ESC_lEENS6_INS7_ISA_KSB_Lm2ESC_lEESG_SI_Lm3ESC_lEEiii.num_vgpr, 9
	.set _ZN2at6native12_GLOBAL__N_131replication_pad_backward_kernelIfEEvN5torch10headeronly6detail27GenericPackedTensorAccessorINS5_14TensorAccessorIN3c108ArrayRefIlEET_Lm2ENS4_16DefaultPtrTraitsElEENS_6detail16IndexBoundsCheckILm3ElEESB_Lm3ESC_lEENS6_INS7_ISA_KSB_Lm2ESC_lEESG_SI_Lm3ESC_lEEiii.num_agpr, 0
	.set _ZN2at6native12_GLOBAL__N_131replication_pad_backward_kernelIfEEvN5torch10headeronly6detail27GenericPackedTensorAccessorINS5_14TensorAccessorIN3c108ArrayRefIlEET_Lm2ENS4_16DefaultPtrTraitsElEENS_6detail16IndexBoundsCheckILm3ElEESB_Lm3ESC_lEENS6_INS7_ISA_KSB_Lm2ESC_lEESG_SI_Lm3ESC_lEEiii.numbered_sgpr, 23
	.set _ZN2at6native12_GLOBAL__N_131replication_pad_backward_kernelIfEEvN5torch10headeronly6detail27GenericPackedTensorAccessorINS5_14TensorAccessorIN3c108ArrayRefIlEET_Lm2ENS4_16DefaultPtrTraitsElEENS_6detail16IndexBoundsCheckILm3ElEESB_Lm3ESC_lEENS6_INS7_ISA_KSB_Lm2ESC_lEESG_SI_Lm3ESC_lEEiii.num_named_barrier, 0
	.set _ZN2at6native12_GLOBAL__N_131replication_pad_backward_kernelIfEEvN5torch10headeronly6detail27GenericPackedTensorAccessorINS5_14TensorAccessorIN3c108ArrayRefIlEET_Lm2ENS4_16DefaultPtrTraitsElEENS_6detail16IndexBoundsCheckILm3ElEESB_Lm3ESC_lEENS6_INS7_ISA_KSB_Lm2ESC_lEESG_SI_Lm3ESC_lEEiii.private_seg_size, 0
	.set _ZN2at6native12_GLOBAL__N_131replication_pad_backward_kernelIfEEvN5torch10headeronly6detail27GenericPackedTensorAccessorINS5_14TensorAccessorIN3c108ArrayRefIlEET_Lm2ENS4_16DefaultPtrTraitsElEENS_6detail16IndexBoundsCheckILm3ElEESB_Lm3ESC_lEENS6_INS7_ISA_KSB_Lm2ESC_lEESG_SI_Lm3ESC_lEEiii.uses_vcc, 1
	.set _ZN2at6native12_GLOBAL__N_131replication_pad_backward_kernelIfEEvN5torch10headeronly6detail27GenericPackedTensorAccessorINS5_14TensorAccessorIN3c108ArrayRefIlEET_Lm2ENS4_16DefaultPtrTraitsElEENS_6detail16IndexBoundsCheckILm3ElEESB_Lm3ESC_lEENS6_INS7_ISA_KSB_Lm2ESC_lEESG_SI_Lm3ESC_lEEiii.uses_flat_scratch, 0
	.set _ZN2at6native12_GLOBAL__N_131replication_pad_backward_kernelIfEEvN5torch10headeronly6detail27GenericPackedTensorAccessorINS5_14TensorAccessorIN3c108ArrayRefIlEET_Lm2ENS4_16DefaultPtrTraitsElEENS_6detail16IndexBoundsCheckILm3ElEESB_Lm3ESC_lEENS6_INS7_ISA_KSB_Lm2ESC_lEESG_SI_Lm3ESC_lEEiii.has_dyn_sized_stack, 0
	.set _ZN2at6native12_GLOBAL__N_131replication_pad_backward_kernelIfEEvN5torch10headeronly6detail27GenericPackedTensorAccessorINS5_14TensorAccessorIN3c108ArrayRefIlEET_Lm2ENS4_16DefaultPtrTraitsElEENS_6detail16IndexBoundsCheckILm3ElEESB_Lm3ESC_lEENS6_INS7_ISA_KSB_Lm2ESC_lEESG_SI_Lm3ESC_lEEiii.has_recursion, 0
	.set _ZN2at6native12_GLOBAL__N_131replication_pad_backward_kernelIfEEvN5torch10headeronly6detail27GenericPackedTensorAccessorINS5_14TensorAccessorIN3c108ArrayRefIlEET_Lm2ENS4_16DefaultPtrTraitsElEENS_6detail16IndexBoundsCheckILm3ElEESB_Lm3ESC_lEENS6_INS7_ISA_KSB_Lm2ESC_lEESG_SI_Lm3ESC_lEEiii.has_indirect_call, 0
	.section	.AMDGPU.csdata,"",@progbits
; Kernel info:
; codeLenInByte = 1112
; TotalNumSgprs: 27
; NumVgprs: 9
; ScratchSize: 0
; MemoryBound: 0
; FloatMode: 240
; IeeeMode: 1
; LDSByteSize: 0 bytes/workgroup (compile time only)
; SGPRBlocks: 3
; VGPRBlocks: 2
; NumSGPRsForWavesPerEU: 27
; NumVGPRsForWavesPerEU: 9
; Occupancy: 10
; WaveLimiterHint : 1
; COMPUTE_PGM_RSRC2:SCRATCH_EN: 0
; COMPUTE_PGM_RSRC2:USER_SGPR: 6
; COMPUTE_PGM_RSRC2:TRAP_HANDLER: 0
; COMPUTE_PGM_RSRC2:TGID_X_EN: 1
; COMPUTE_PGM_RSRC2:TGID_Y_EN: 1
; COMPUTE_PGM_RSRC2:TGID_Z_EN: 1
; COMPUTE_PGM_RSRC2:TIDIG_COMP_CNT: 0
	.section	.text._ZN2at6native12_GLOBAL__N_131replication_pad_backward_kernelIN3c107complexIdEEEEvN5torch10headeronly6detail27GenericPackedTensorAccessorINS8_14TensorAccessorINS3_8ArrayRefIlEET_Lm2ENS7_16DefaultPtrTraitsElEENS_6detail16IndexBoundsCheckILm3ElEESD_Lm3ESE_lEENS9_INSA_ISC_KSD_Lm2ESE_lEESI_SK_Lm3ESE_lEEiii,"axG",@progbits,_ZN2at6native12_GLOBAL__N_131replication_pad_backward_kernelIN3c107complexIdEEEEvN5torch10headeronly6detail27GenericPackedTensorAccessorINS8_14TensorAccessorINS3_8ArrayRefIlEET_Lm2ENS7_16DefaultPtrTraitsElEENS_6detail16IndexBoundsCheckILm3ElEESD_Lm3ESE_lEENS9_INSA_ISC_KSD_Lm2ESE_lEESI_SK_Lm3ESE_lEEiii,comdat
	.globl	_ZN2at6native12_GLOBAL__N_131replication_pad_backward_kernelIN3c107complexIdEEEEvN5torch10headeronly6detail27GenericPackedTensorAccessorINS8_14TensorAccessorINS3_8ArrayRefIlEET_Lm2ENS7_16DefaultPtrTraitsElEENS_6detail16IndexBoundsCheckILm3ElEESD_Lm3ESE_lEENS9_INSA_ISC_KSD_Lm2ESE_lEESI_SK_Lm3ESE_lEEiii ; -- Begin function _ZN2at6native12_GLOBAL__N_131replication_pad_backward_kernelIN3c107complexIdEEEEvN5torch10headeronly6detail27GenericPackedTensorAccessorINS8_14TensorAccessorINS3_8ArrayRefIlEET_Lm2ENS7_16DefaultPtrTraitsElEENS_6detail16IndexBoundsCheckILm3ElEESD_Lm3ESE_lEENS9_INSA_ISC_KSD_Lm2ESE_lEESI_SK_Lm3ESE_lEEiii
	.p2align	8
	.type	_ZN2at6native12_GLOBAL__N_131replication_pad_backward_kernelIN3c107complexIdEEEEvN5torch10headeronly6detail27GenericPackedTensorAccessorINS8_14TensorAccessorINS3_8ArrayRefIlEET_Lm2ENS7_16DefaultPtrTraitsElEENS_6detail16IndexBoundsCheckILm3ElEESD_Lm3ESE_lEENS9_INSA_ISC_KSD_Lm2ESE_lEESI_SK_Lm3ESE_lEEiii,@function
_ZN2at6native12_GLOBAL__N_131replication_pad_backward_kernelIN3c107complexIdEEEEvN5torch10headeronly6detail27GenericPackedTensorAccessorINS8_14TensorAccessorINS3_8ArrayRefIlEET_Lm2ENS7_16DefaultPtrTraitsElEENS_6detail16IndexBoundsCheckILm3ElEESD_Lm3ESE_lEENS9_INSA_ISC_KSD_Lm2ESE_lEESI_SK_Lm3ESE_lEEiii: ; @_ZN2at6native12_GLOBAL__N_131replication_pad_backward_kernelIN3c107complexIdEEEEvN5torch10headeronly6detail27GenericPackedTensorAccessorINS8_14TensorAccessorINS3_8ArrayRefIlEET_Lm2ENS7_16DefaultPtrTraitsElEENS_6detail16IndexBoundsCheckILm3ElEESD_Lm3ESE_lEENS9_INSA_ISC_KSD_Lm2ESE_lEESI_SK_Lm3ESE_lEEiii
; %bb.0:
	s_load_dword s0, s[4:5], 0x8c
	s_load_dwordx2 s[10:11], s[4:5], 0x50
	v_mov_b32_e32 v2, 0
	v_mov_b32_e32 v1, v2
	;; [unrolled: 1-line block ×3, first 2 shown]
	s_waitcnt lgkmcnt(0)
	s_and_b32 s0, s0, 0xffff
	v_mad_u64_u32 v[0:1], s[0:1], s0, v3, v[0:1]
	v_cmp_gt_i64_e32 vcc, s[10:11], v[0:1]
	s_and_saveexec_b64 s[0:1], vcc
	s_cbranch_execz .LBB25_9
; %bb.1:
	v_or_b32_e32 v3, s11, v1
	v_cmp_ne_u64_e32 vcc, 0, v[2:3]
                                        ; implicit-def: $vgpr2_vgpr3
	s_and_saveexec_b64 s[0:1], vcc
	s_xor_b64 s[12:13], exec, s[0:1]
	s_cbranch_execz .LBB25_3
; %bb.2:
	v_cvt_f32_u32_e32 v2, s10
	v_cvt_f32_u32_e32 v3, s11
	s_sub_u32 s2, 0, s10
	s_subb_u32 s3, 0, s11
	v_madmk_f32 v2, v3, 0x4f800000, v2
	v_rcp_f32_e32 v2, v2
	v_mul_f32_e32 v2, 0x5f7ffffc, v2
	v_mul_f32_e32 v3, 0x2f800000, v2
	v_trunc_f32_e32 v3, v3
	v_madmk_f32 v2, v3, 0xcf800000, v2
	v_cvt_u32_f32_e32 v3, v3
	v_cvt_u32_f32_e32 v2, v2
	v_readfirstlane_b32 s6, v3
	v_readfirstlane_b32 s0, v2
	s_mul_i32 s1, s2, s6
	s_mul_hi_u32 s14, s2, s0
	s_mul_i32 s9, s3, s0
	s_add_i32 s1, s14, s1
	s_mul_i32 s15, s2, s0
	s_add_i32 s1, s1, s9
	s_mul_i32 s14, s0, s1
	s_mul_hi_u32 s16, s0, s15
	s_mul_hi_u32 s9, s0, s1
	s_add_u32 s14, s16, s14
	s_addc_u32 s9, 0, s9
	s_mul_hi_u32 s17, s6, s15
	s_mul_i32 s15, s6, s15
	s_add_u32 s14, s14, s15
	s_mul_hi_u32 s16, s6, s1
	s_addc_u32 s9, s9, s17
	s_addc_u32 s14, s16, 0
	s_mul_i32 s1, s6, s1
	s_add_u32 s1, s9, s1
	s_addc_u32 s9, 0, s14
	s_add_u32 s14, s0, s1
	s_cselect_b64 s[0:1], -1, 0
	s_cmp_lg_u64 s[0:1], 0
	s_addc_u32 s6, s6, s9
	s_mul_i32 s0, s2, s6
	s_mul_hi_u32 s1, s2, s14
	s_add_i32 s0, s1, s0
	s_mul_i32 s3, s3, s14
	s_add_i32 s0, s0, s3
	s_mul_i32 s2, s2, s14
	s_mul_hi_u32 s3, s6, s2
	s_mul_i32 s9, s6, s2
	s_mul_i32 s16, s14, s0
	s_mul_hi_u32 s2, s14, s2
	s_mul_hi_u32 s15, s14, s0
	s_add_u32 s2, s2, s16
	s_addc_u32 s15, 0, s15
	s_add_u32 s2, s2, s9
	s_mul_hi_u32 s1, s6, s0
	s_addc_u32 s2, s15, s3
	s_addc_u32 s1, s1, 0
	s_mul_i32 s0, s6, s0
	s_add_u32 s0, s2, s0
	s_addc_u32 s2, 0, s1
	s_add_u32 s3, s14, s0
	s_cselect_b64 s[0:1], -1, 0
	s_cmp_lg_u64 s[0:1], 0
	s_addc_u32 s2, s6, s2
	v_mad_u64_u32 v[2:3], s[0:1], v0, s2, 0
	v_mul_hi_u32 v4, v0, s3
	v_add_co_u32_e32 v6, vcc, v4, v2
	v_addc_co_u32_e32 v7, vcc, 0, v3, vcc
	v_mad_u64_u32 v[2:3], s[0:1], v1, s3, 0
	v_mad_u64_u32 v[4:5], s[0:1], v1, s2, 0
	v_add_co_u32_e32 v2, vcc, v6, v2
	v_addc_co_u32_e32 v2, vcc, v7, v3, vcc
	v_addc_co_u32_e32 v3, vcc, 0, v5, vcc
	v_add_co_u32_e32 v2, vcc, v2, v4
	v_addc_co_u32_e32 v3, vcc, 0, v3, vcc
	v_mul_lo_u32 v4, s11, v2
	v_mul_lo_u32 v5, s10, v3
	v_mad_u64_u32 v[2:3], s[0:1], s10, v2, 0
	v_add3_u32 v3, v3, v5, v4
	v_sub_u32_e32 v4, v1, v3
	v_mov_b32_e32 v5, s11
	v_sub_co_u32_e32 v0, vcc, v0, v2
	v_subb_co_u32_e64 v2, s[0:1], v4, v5, vcc
	v_subrev_co_u32_e64 v4, s[0:1], s10, v0
	v_subbrev_co_u32_e64 v6, s[2:3], 0, v2, s[0:1]
	v_cmp_le_u32_e64 s[2:3], s11, v6
	v_cndmask_b32_e64 v7, 0, -1, s[2:3]
	v_cmp_le_u32_e64 s[2:3], s10, v4
	v_subb_co_u32_e64 v2, s[0:1], v2, v5, s[0:1]
	v_cndmask_b32_e64 v8, 0, -1, s[2:3]
	v_cmp_eq_u32_e64 s[2:3], s11, v6
	v_subrev_co_u32_e64 v5, s[0:1], s10, v4
	v_subb_co_u32_e32 v1, vcc, v1, v3, vcc
	v_cndmask_b32_e64 v7, v7, v8, s[2:3]
	v_subbrev_co_u32_e64 v2, s[0:1], 0, v2, s[0:1]
	v_cmp_le_u32_e32 vcc, s11, v1
	v_cmp_ne_u32_e64 s[0:1], 0, v7
	v_cndmask_b32_e64 v3, 0, -1, vcc
	v_cmp_le_u32_e32 vcc, s10, v0
	v_cndmask_b32_e64 v2, v6, v2, s[0:1]
	v_cndmask_b32_e64 v6, 0, -1, vcc
	v_cmp_eq_u32_e32 vcc, s11, v1
	v_cndmask_b32_e32 v3, v3, v6, vcc
	v_cmp_ne_u32_e32 vcc, 0, v3
	v_cndmask_b32_e32 v3, v1, v2, vcc
	v_cndmask_b32_e64 v1, v4, v5, s[0:1]
	v_cndmask_b32_e32 v2, v0, v1, vcc
                                        ; implicit-def: $vgpr0_vgpr1
.LBB25_3:
	s_andn2_saveexec_b64 s[0:1], s[12:13]
	s_cbranch_execz .LBB25_5
; %bb.4:
	v_cvt_f32_u32_e32 v1, s10
	s_sub_i32 s2, 0, s10
	v_mov_b32_e32 v3, 0
	v_rcp_iflag_f32_e32 v1, v1
	v_mul_f32_e32 v1, 0x4f7ffffe, v1
	v_cvt_u32_f32_e32 v1, v1
	v_mul_lo_u32 v2, s2, v1
	v_mul_hi_u32 v2, v1, v2
	v_add_u32_e32 v1, v1, v2
	v_mul_hi_u32 v1, v0, v1
	v_mul_lo_u32 v1, v1, s10
	v_sub_u32_e32 v0, v0, v1
	v_subrev_u32_e32 v1, s10, v0
	v_cmp_le_u32_e32 vcc, s10, v0
	v_cndmask_b32_e32 v0, v0, v1, vcc
	v_subrev_u32_e32 v1, s10, v0
	v_cmp_le_u32_e32 vcc, s10, v0
	v_cndmask_b32_e32 v2, v0, v1, vcc
.LBB25_5:
	s_or_b64 exec, exec, s[0:1]
	s_load_dwordx4 s[0:3], s[4:5], 0x70
	s_load_dwordx8 s[12:19], s[4:5], 0x18
	s_load_dwordx2 s[10:11], s[4:5], 0x68
	s_waitcnt lgkmcnt(0)
	s_add_i32 s20, s1, s7
	s_sub_i32 s1, 0, s0
	s_add_i32 s13, s2, s8
	s_max_i32 s21, s1, 0
	s_max_i32 s22, s0, 0
	v_max_i32_e32 v0, s0, v2
	s_add_i32 s12, s0, s12
	s_load_dwordx2 s[8:9], s[4:5], 0x38
	s_load_dwordx4 s[0:3], s[4:5], 0x58
	s_add_i32 s12, s12, -1
	s_load_dwordx2 s[6:7], s[4:5], 0x0
	v_min_i32_e32 v0, s12, v0
	s_sub_i32 s4, s21, s22
	v_add_u32_e32 v4, s4, v0
	s_waitcnt lgkmcnt(0)
	s_mul_i32 s1, s1, s13
	s_mul_hi_u32 s4, s0, s13
	s_add_i32 s1, s4, s1
	s_mul_i32 s0, s0, s13
	s_lshl_b64 s[0:1], s[0:1], 4
	s_add_u32 s4, s8, s0
	s_addc_u32 s5, s9, s1
	s_mul_i32 s0, s3, s20
	s_mul_hi_u32 s1, s2, s20
	s_add_i32 s1, s1, s0
	s_mul_i32 s0, s2, s20
	v_mul_lo_u32 v5, s11, v2
	v_mul_lo_u32 v3, s10, v3
	v_mad_u64_u32 v[0:1], s[2:3], s10, v2, 0
	s_lshl_b64 s[0:1], s[0:1], 4
	s_add_u32 s0, s4, s0
	v_add3_u32 v1, v1, v3, v5
	v_lshlrev_b64 v[0:1], 4, v[0:1]
	s_addc_u32 s1, s5, s1
	v_mov_b32_e32 v2, s1
	v_add_co_u32_e32 v0, vcc, s0, v0
	s_mul_i32 s0, s15, s13
	s_mul_hi_u32 s1, s14, s13
	s_add_i32 s1, s1, s0
	s_mul_i32 s0, s14, s13
	v_ashrrev_i32_e32 v5, 31, v4
	s_lshl_b64 s[0:1], s[0:1], 4
	v_mul_lo_u32 v6, s18, v5
	v_mul_lo_u32 v7, s19, v4
	v_mad_u64_u32 v[4:5], s[2:3], s18, v4, 0
	s_add_u32 s4, s6, s0
	s_addc_u32 s5, s7, s1
	s_mul_i32 s0, s17, s20
	s_mul_hi_u32 s1, s16, s20
	s_add_i32 s1, s1, s0
	s_mul_i32 s0, s16, s20
	s_lshl_b64 s[0:1], s[0:1], 4
	v_add3_u32 v5, v5, v6, v7
	s_add_u32 s0, s4, s0
	v_lshlrev_b64 v[4:5], 4, v[4:5]
	v_addc_co_u32_e32 v1, vcc, v2, v1, vcc
	s_addc_u32 s1, s5, s1
	v_mov_b32_e32 v6, s1
	v_add_co_u32_e32 v8, vcc, s0, v4
	v_addc_co_u32_e32 v9, vcc, v6, v5, vcc
	global_load_dwordx4 v[0:3], v[0:1], off
	s_mov_b64 s[0:1], 0
	global_load_dwordx2 v[6:7], v[8:9], off
.LBB25_6:                               ; =>This Inner Loop Header: Depth=1
	s_waitcnt vmcnt(0)
	v_add_f64 v[4:5], v[6:7], v[0:1]
	global_atomic_cmpswap_x2 v[4:5], v[8:9], v[4:7], off glc
	s_waitcnt vmcnt(0)
	v_cmp_eq_u64_e32 vcc, v[4:5], v[6:7]
	v_mov_b32_e32 v7, v5
	s_or_b64 s[0:1], vcc, s[0:1]
	v_mov_b32_e32 v6, v4
	s_andn2_b64 exec, exec, s[0:1]
	s_cbranch_execnz .LBB25_6
; %bb.7:
	s_or_b64 exec, exec, s[0:1]
	global_load_dwordx2 v[6:7], v[8:9], off offset:8
	s_mov_b64 s[0:1], 0
.LBB25_8:                               ; =>This Inner Loop Header: Depth=1
	s_waitcnt vmcnt(0)
	v_add_f64 v[4:5], v[6:7], v[2:3]
	global_atomic_cmpswap_x2 v[0:1], v[8:9], v[4:7], off offset:8 glc
	s_waitcnt vmcnt(0)
	v_cmp_eq_u64_e32 vcc, v[0:1], v[6:7]
	v_mov_b32_e32 v7, v1
	s_or_b64 s[0:1], vcc, s[0:1]
	v_mov_b32_e32 v6, v0
	s_andn2_b64 exec, exec, s[0:1]
	s_cbranch_execnz .LBB25_8
.LBB25_9:
	s_endpgm
	.section	.rodata,"a",@progbits
	.p2align	6, 0x0
	.amdhsa_kernel _ZN2at6native12_GLOBAL__N_131replication_pad_backward_kernelIN3c107complexIdEEEEvN5torch10headeronly6detail27GenericPackedTensorAccessorINS8_14TensorAccessorINS3_8ArrayRefIlEET_Lm2ENS7_16DefaultPtrTraitsElEENS_6detail16IndexBoundsCheckILm3ElEESD_Lm3ESE_lEENS9_INSA_ISC_KSD_Lm2ESE_lEESI_SK_Lm3ESE_lEEiii
		.amdhsa_group_segment_fixed_size 0
		.amdhsa_private_segment_fixed_size 0
		.amdhsa_kernarg_size 384
		.amdhsa_user_sgpr_count 6
		.amdhsa_user_sgpr_private_segment_buffer 1
		.amdhsa_user_sgpr_dispatch_ptr 0
		.amdhsa_user_sgpr_queue_ptr 0
		.amdhsa_user_sgpr_kernarg_segment_ptr 1
		.amdhsa_user_sgpr_dispatch_id 0
		.amdhsa_user_sgpr_flat_scratch_init 0
		.amdhsa_user_sgpr_private_segment_size 0
		.amdhsa_uses_dynamic_stack 0
		.amdhsa_system_sgpr_private_segment_wavefront_offset 0
		.amdhsa_system_sgpr_workgroup_id_x 1
		.amdhsa_system_sgpr_workgroup_id_y 1
		.amdhsa_system_sgpr_workgroup_id_z 1
		.amdhsa_system_sgpr_workgroup_info 0
		.amdhsa_system_vgpr_workitem_id 0
		.amdhsa_next_free_vgpr 10
		.amdhsa_next_free_sgpr 23
		.amdhsa_reserve_vcc 1
		.amdhsa_reserve_flat_scratch 0
		.amdhsa_float_round_mode_32 0
		.amdhsa_float_round_mode_16_64 0
		.amdhsa_float_denorm_mode_32 3
		.amdhsa_float_denorm_mode_16_64 3
		.amdhsa_dx10_clamp 1
		.amdhsa_ieee_mode 1
		.amdhsa_fp16_overflow 0
		.amdhsa_exception_fp_ieee_invalid_op 0
		.amdhsa_exception_fp_denorm_src 0
		.amdhsa_exception_fp_ieee_div_zero 0
		.amdhsa_exception_fp_ieee_overflow 0
		.amdhsa_exception_fp_ieee_underflow 0
		.amdhsa_exception_fp_ieee_inexact 0
		.amdhsa_exception_int_div_zero 0
	.end_amdhsa_kernel
	.section	.text._ZN2at6native12_GLOBAL__N_131replication_pad_backward_kernelIN3c107complexIdEEEEvN5torch10headeronly6detail27GenericPackedTensorAccessorINS8_14TensorAccessorINS3_8ArrayRefIlEET_Lm2ENS7_16DefaultPtrTraitsElEENS_6detail16IndexBoundsCheckILm3ElEESD_Lm3ESE_lEENS9_INSA_ISC_KSD_Lm2ESE_lEESI_SK_Lm3ESE_lEEiii,"axG",@progbits,_ZN2at6native12_GLOBAL__N_131replication_pad_backward_kernelIN3c107complexIdEEEEvN5torch10headeronly6detail27GenericPackedTensorAccessorINS8_14TensorAccessorINS3_8ArrayRefIlEET_Lm2ENS7_16DefaultPtrTraitsElEENS_6detail16IndexBoundsCheckILm3ElEESD_Lm3ESE_lEENS9_INSA_ISC_KSD_Lm2ESE_lEESI_SK_Lm3ESE_lEEiii,comdat
.Lfunc_end25:
	.size	_ZN2at6native12_GLOBAL__N_131replication_pad_backward_kernelIN3c107complexIdEEEEvN5torch10headeronly6detail27GenericPackedTensorAccessorINS8_14TensorAccessorINS3_8ArrayRefIlEET_Lm2ENS7_16DefaultPtrTraitsElEENS_6detail16IndexBoundsCheckILm3ElEESD_Lm3ESE_lEENS9_INSA_ISC_KSD_Lm2ESE_lEESI_SK_Lm3ESE_lEEiii, .Lfunc_end25-_ZN2at6native12_GLOBAL__N_131replication_pad_backward_kernelIN3c107complexIdEEEEvN5torch10headeronly6detail27GenericPackedTensorAccessorINS8_14TensorAccessorINS3_8ArrayRefIlEET_Lm2ENS7_16DefaultPtrTraitsElEENS_6detail16IndexBoundsCheckILm3ElEESD_Lm3ESE_lEENS9_INSA_ISC_KSD_Lm2ESE_lEESI_SK_Lm3ESE_lEEiii
                                        ; -- End function
	.set _ZN2at6native12_GLOBAL__N_131replication_pad_backward_kernelIN3c107complexIdEEEEvN5torch10headeronly6detail27GenericPackedTensorAccessorINS8_14TensorAccessorINS3_8ArrayRefIlEET_Lm2ENS7_16DefaultPtrTraitsElEENS_6detail16IndexBoundsCheckILm3ElEESD_Lm3ESE_lEENS9_INSA_ISC_KSD_Lm2ESE_lEESI_SK_Lm3ESE_lEEiii.num_vgpr, 10
	.set _ZN2at6native12_GLOBAL__N_131replication_pad_backward_kernelIN3c107complexIdEEEEvN5torch10headeronly6detail27GenericPackedTensorAccessorINS8_14TensorAccessorINS3_8ArrayRefIlEET_Lm2ENS7_16DefaultPtrTraitsElEENS_6detail16IndexBoundsCheckILm3ElEESD_Lm3ESE_lEENS9_INSA_ISC_KSD_Lm2ESE_lEESI_SK_Lm3ESE_lEEiii.num_agpr, 0
	.set _ZN2at6native12_GLOBAL__N_131replication_pad_backward_kernelIN3c107complexIdEEEEvN5torch10headeronly6detail27GenericPackedTensorAccessorINS8_14TensorAccessorINS3_8ArrayRefIlEET_Lm2ENS7_16DefaultPtrTraitsElEENS_6detail16IndexBoundsCheckILm3ElEESD_Lm3ESE_lEENS9_INSA_ISC_KSD_Lm2ESE_lEESI_SK_Lm3ESE_lEEiii.numbered_sgpr, 23
	.set _ZN2at6native12_GLOBAL__N_131replication_pad_backward_kernelIN3c107complexIdEEEEvN5torch10headeronly6detail27GenericPackedTensorAccessorINS8_14TensorAccessorINS3_8ArrayRefIlEET_Lm2ENS7_16DefaultPtrTraitsElEENS_6detail16IndexBoundsCheckILm3ElEESD_Lm3ESE_lEENS9_INSA_ISC_KSD_Lm2ESE_lEESI_SK_Lm3ESE_lEEiii.num_named_barrier, 0
	.set _ZN2at6native12_GLOBAL__N_131replication_pad_backward_kernelIN3c107complexIdEEEEvN5torch10headeronly6detail27GenericPackedTensorAccessorINS8_14TensorAccessorINS3_8ArrayRefIlEET_Lm2ENS7_16DefaultPtrTraitsElEENS_6detail16IndexBoundsCheckILm3ElEESD_Lm3ESE_lEENS9_INSA_ISC_KSD_Lm2ESE_lEESI_SK_Lm3ESE_lEEiii.private_seg_size, 0
	.set _ZN2at6native12_GLOBAL__N_131replication_pad_backward_kernelIN3c107complexIdEEEEvN5torch10headeronly6detail27GenericPackedTensorAccessorINS8_14TensorAccessorINS3_8ArrayRefIlEET_Lm2ENS7_16DefaultPtrTraitsElEENS_6detail16IndexBoundsCheckILm3ElEESD_Lm3ESE_lEENS9_INSA_ISC_KSD_Lm2ESE_lEESI_SK_Lm3ESE_lEEiii.uses_vcc, 1
	.set _ZN2at6native12_GLOBAL__N_131replication_pad_backward_kernelIN3c107complexIdEEEEvN5torch10headeronly6detail27GenericPackedTensorAccessorINS8_14TensorAccessorINS3_8ArrayRefIlEET_Lm2ENS7_16DefaultPtrTraitsElEENS_6detail16IndexBoundsCheckILm3ElEESD_Lm3ESE_lEENS9_INSA_ISC_KSD_Lm2ESE_lEESI_SK_Lm3ESE_lEEiii.uses_flat_scratch, 0
	.set _ZN2at6native12_GLOBAL__N_131replication_pad_backward_kernelIN3c107complexIdEEEEvN5torch10headeronly6detail27GenericPackedTensorAccessorINS8_14TensorAccessorINS3_8ArrayRefIlEET_Lm2ENS7_16DefaultPtrTraitsElEENS_6detail16IndexBoundsCheckILm3ElEESD_Lm3ESE_lEENS9_INSA_ISC_KSD_Lm2ESE_lEESI_SK_Lm3ESE_lEEiii.has_dyn_sized_stack, 0
	.set _ZN2at6native12_GLOBAL__N_131replication_pad_backward_kernelIN3c107complexIdEEEEvN5torch10headeronly6detail27GenericPackedTensorAccessorINS8_14TensorAccessorINS3_8ArrayRefIlEET_Lm2ENS7_16DefaultPtrTraitsElEENS_6detail16IndexBoundsCheckILm3ElEESD_Lm3ESE_lEENS9_INSA_ISC_KSD_Lm2ESE_lEESI_SK_Lm3ESE_lEEiii.has_recursion, 0
	.set _ZN2at6native12_GLOBAL__N_131replication_pad_backward_kernelIN3c107complexIdEEEEvN5torch10headeronly6detail27GenericPackedTensorAccessorINS8_14TensorAccessorINS3_8ArrayRefIlEET_Lm2ENS7_16DefaultPtrTraitsElEENS_6detail16IndexBoundsCheckILm3ElEESD_Lm3ESE_lEENS9_INSA_ISC_KSD_Lm2ESE_lEESI_SK_Lm3ESE_lEEiii.has_indirect_call, 0
	.section	.AMDGPU.csdata,"",@progbits
; Kernel info:
; codeLenInByte = 1184
; TotalNumSgprs: 27
; NumVgprs: 10
; ScratchSize: 0
; MemoryBound: 0
; FloatMode: 240
; IeeeMode: 1
; LDSByteSize: 0 bytes/workgroup (compile time only)
; SGPRBlocks: 3
; VGPRBlocks: 2
; NumSGPRsForWavesPerEU: 27
; NumVGPRsForWavesPerEU: 10
; Occupancy: 10
; WaveLimiterHint : 1
; COMPUTE_PGM_RSRC2:SCRATCH_EN: 0
; COMPUTE_PGM_RSRC2:USER_SGPR: 6
; COMPUTE_PGM_RSRC2:TRAP_HANDLER: 0
; COMPUTE_PGM_RSRC2:TGID_X_EN: 1
; COMPUTE_PGM_RSRC2:TGID_Y_EN: 1
; COMPUTE_PGM_RSRC2:TGID_Z_EN: 1
; COMPUTE_PGM_RSRC2:TIDIG_COMP_CNT: 0
	.section	.text._ZN2at6native12_GLOBAL__N_131replication_pad_backward_kernelIN3c107complexIfEEEEvN5torch10headeronly6detail27GenericPackedTensorAccessorINS8_14TensorAccessorINS3_8ArrayRefIlEET_Lm2ENS7_16DefaultPtrTraitsElEENS_6detail16IndexBoundsCheckILm3ElEESD_Lm3ESE_lEENS9_INSA_ISC_KSD_Lm2ESE_lEESI_SK_Lm3ESE_lEEiii,"axG",@progbits,_ZN2at6native12_GLOBAL__N_131replication_pad_backward_kernelIN3c107complexIfEEEEvN5torch10headeronly6detail27GenericPackedTensorAccessorINS8_14TensorAccessorINS3_8ArrayRefIlEET_Lm2ENS7_16DefaultPtrTraitsElEENS_6detail16IndexBoundsCheckILm3ElEESD_Lm3ESE_lEENS9_INSA_ISC_KSD_Lm2ESE_lEESI_SK_Lm3ESE_lEEiii,comdat
	.globl	_ZN2at6native12_GLOBAL__N_131replication_pad_backward_kernelIN3c107complexIfEEEEvN5torch10headeronly6detail27GenericPackedTensorAccessorINS8_14TensorAccessorINS3_8ArrayRefIlEET_Lm2ENS7_16DefaultPtrTraitsElEENS_6detail16IndexBoundsCheckILm3ElEESD_Lm3ESE_lEENS9_INSA_ISC_KSD_Lm2ESE_lEESI_SK_Lm3ESE_lEEiii ; -- Begin function _ZN2at6native12_GLOBAL__N_131replication_pad_backward_kernelIN3c107complexIfEEEEvN5torch10headeronly6detail27GenericPackedTensorAccessorINS8_14TensorAccessorINS3_8ArrayRefIlEET_Lm2ENS7_16DefaultPtrTraitsElEENS_6detail16IndexBoundsCheckILm3ElEESD_Lm3ESE_lEENS9_INSA_ISC_KSD_Lm2ESE_lEESI_SK_Lm3ESE_lEEiii
	.p2align	8
	.type	_ZN2at6native12_GLOBAL__N_131replication_pad_backward_kernelIN3c107complexIfEEEEvN5torch10headeronly6detail27GenericPackedTensorAccessorINS8_14TensorAccessorINS3_8ArrayRefIlEET_Lm2ENS7_16DefaultPtrTraitsElEENS_6detail16IndexBoundsCheckILm3ElEESD_Lm3ESE_lEENS9_INSA_ISC_KSD_Lm2ESE_lEESI_SK_Lm3ESE_lEEiii,@function
_ZN2at6native12_GLOBAL__N_131replication_pad_backward_kernelIN3c107complexIfEEEEvN5torch10headeronly6detail27GenericPackedTensorAccessorINS8_14TensorAccessorINS3_8ArrayRefIlEET_Lm2ENS7_16DefaultPtrTraitsElEENS_6detail16IndexBoundsCheckILm3ElEESD_Lm3ESE_lEENS9_INSA_ISC_KSD_Lm2ESE_lEESI_SK_Lm3ESE_lEEiii: ; @_ZN2at6native12_GLOBAL__N_131replication_pad_backward_kernelIN3c107complexIfEEEEvN5torch10headeronly6detail27GenericPackedTensorAccessorINS8_14TensorAccessorINS3_8ArrayRefIlEET_Lm2ENS7_16DefaultPtrTraitsElEENS_6detail16IndexBoundsCheckILm3ElEESD_Lm3ESE_lEENS9_INSA_ISC_KSD_Lm2ESE_lEESI_SK_Lm3ESE_lEEiii
; %bb.0:
	s_load_dword s0, s[4:5], 0x8c
	s_load_dwordx2 s[10:11], s[4:5], 0x50
	v_mov_b32_e32 v2, 0
	v_mov_b32_e32 v1, v2
	;; [unrolled: 1-line block ×3, first 2 shown]
	s_waitcnt lgkmcnt(0)
	s_and_b32 s0, s0, 0xffff
	v_mad_u64_u32 v[0:1], s[0:1], s0, v3, v[0:1]
	v_cmp_gt_i64_e32 vcc, s[10:11], v[0:1]
	s_and_saveexec_b64 s[0:1], vcc
	s_cbranch_execz .LBB26_9
; %bb.1:
	v_or_b32_e32 v3, s11, v1
	v_cmp_ne_u64_e32 vcc, 0, v[2:3]
                                        ; implicit-def: $vgpr2_vgpr3
	s_and_saveexec_b64 s[0:1], vcc
	s_xor_b64 s[12:13], exec, s[0:1]
	s_cbranch_execz .LBB26_3
; %bb.2:
	v_cvt_f32_u32_e32 v2, s10
	v_cvt_f32_u32_e32 v3, s11
	s_sub_u32 s2, 0, s10
	s_subb_u32 s3, 0, s11
	v_madmk_f32 v2, v3, 0x4f800000, v2
	v_rcp_f32_e32 v2, v2
	v_mul_f32_e32 v2, 0x5f7ffffc, v2
	v_mul_f32_e32 v3, 0x2f800000, v2
	v_trunc_f32_e32 v3, v3
	v_madmk_f32 v2, v3, 0xcf800000, v2
	v_cvt_u32_f32_e32 v3, v3
	v_cvt_u32_f32_e32 v2, v2
	v_readfirstlane_b32 s6, v3
	v_readfirstlane_b32 s0, v2
	s_mul_i32 s1, s2, s6
	s_mul_hi_u32 s14, s2, s0
	s_mul_i32 s9, s3, s0
	s_add_i32 s1, s14, s1
	s_mul_i32 s15, s2, s0
	s_add_i32 s1, s1, s9
	s_mul_i32 s14, s0, s1
	s_mul_hi_u32 s16, s0, s15
	s_mul_hi_u32 s9, s0, s1
	s_add_u32 s14, s16, s14
	s_addc_u32 s9, 0, s9
	s_mul_hi_u32 s17, s6, s15
	s_mul_i32 s15, s6, s15
	s_add_u32 s14, s14, s15
	s_mul_hi_u32 s16, s6, s1
	s_addc_u32 s9, s9, s17
	s_addc_u32 s14, s16, 0
	s_mul_i32 s1, s6, s1
	s_add_u32 s1, s9, s1
	s_addc_u32 s9, 0, s14
	s_add_u32 s14, s0, s1
	s_cselect_b64 s[0:1], -1, 0
	s_cmp_lg_u64 s[0:1], 0
	s_addc_u32 s6, s6, s9
	s_mul_i32 s0, s2, s6
	s_mul_hi_u32 s1, s2, s14
	s_add_i32 s0, s1, s0
	s_mul_i32 s3, s3, s14
	s_add_i32 s0, s0, s3
	s_mul_i32 s2, s2, s14
	s_mul_hi_u32 s3, s6, s2
	s_mul_i32 s9, s6, s2
	s_mul_i32 s16, s14, s0
	s_mul_hi_u32 s2, s14, s2
	s_mul_hi_u32 s15, s14, s0
	s_add_u32 s2, s2, s16
	s_addc_u32 s15, 0, s15
	s_add_u32 s2, s2, s9
	s_mul_hi_u32 s1, s6, s0
	s_addc_u32 s2, s15, s3
	s_addc_u32 s1, s1, 0
	s_mul_i32 s0, s6, s0
	s_add_u32 s0, s2, s0
	s_addc_u32 s2, 0, s1
	s_add_u32 s3, s14, s0
	s_cselect_b64 s[0:1], -1, 0
	s_cmp_lg_u64 s[0:1], 0
	s_addc_u32 s2, s6, s2
	v_mad_u64_u32 v[2:3], s[0:1], v0, s2, 0
	v_mul_hi_u32 v4, v0, s3
	v_add_co_u32_e32 v6, vcc, v4, v2
	v_addc_co_u32_e32 v7, vcc, 0, v3, vcc
	v_mad_u64_u32 v[2:3], s[0:1], v1, s3, 0
	v_mad_u64_u32 v[4:5], s[0:1], v1, s2, 0
	v_add_co_u32_e32 v2, vcc, v6, v2
	v_addc_co_u32_e32 v2, vcc, v7, v3, vcc
	v_addc_co_u32_e32 v3, vcc, 0, v5, vcc
	v_add_co_u32_e32 v2, vcc, v2, v4
	v_addc_co_u32_e32 v3, vcc, 0, v3, vcc
	v_mul_lo_u32 v4, s11, v2
	v_mul_lo_u32 v5, s10, v3
	v_mad_u64_u32 v[2:3], s[0:1], s10, v2, 0
	v_add3_u32 v3, v3, v5, v4
	v_sub_u32_e32 v4, v1, v3
	v_mov_b32_e32 v5, s11
	v_sub_co_u32_e32 v0, vcc, v0, v2
	v_subb_co_u32_e64 v2, s[0:1], v4, v5, vcc
	v_subrev_co_u32_e64 v4, s[0:1], s10, v0
	v_subbrev_co_u32_e64 v6, s[2:3], 0, v2, s[0:1]
	v_cmp_le_u32_e64 s[2:3], s11, v6
	v_cndmask_b32_e64 v7, 0, -1, s[2:3]
	v_cmp_le_u32_e64 s[2:3], s10, v4
	v_subb_co_u32_e64 v2, s[0:1], v2, v5, s[0:1]
	v_cndmask_b32_e64 v8, 0, -1, s[2:3]
	v_cmp_eq_u32_e64 s[2:3], s11, v6
	v_subrev_co_u32_e64 v5, s[0:1], s10, v4
	v_subb_co_u32_e32 v1, vcc, v1, v3, vcc
	v_cndmask_b32_e64 v7, v7, v8, s[2:3]
	v_subbrev_co_u32_e64 v2, s[0:1], 0, v2, s[0:1]
	v_cmp_le_u32_e32 vcc, s11, v1
	v_cmp_ne_u32_e64 s[0:1], 0, v7
	v_cndmask_b32_e64 v3, 0, -1, vcc
	v_cmp_le_u32_e32 vcc, s10, v0
	v_cndmask_b32_e64 v2, v6, v2, s[0:1]
	v_cndmask_b32_e64 v6, 0, -1, vcc
	v_cmp_eq_u32_e32 vcc, s11, v1
	v_cndmask_b32_e32 v3, v3, v6, vcc
	v_cmp_ne_u32_e32 vcc, 0, v3
	v_cndmask_b32_e32 v3, v1, v2, vcc
	v_cndmask_b32_e64 v1, v4, v5, s[0:1]
	v_cndmask_b32_e32 v2, v0, v1, vcc
                                        ; implicit-def: $vgpr0_vgpr1
.LBB26_3:
	s_andn2_saveexec_b64 s[0:1], s[12:13]
	s_cbranch_execz .LBB26_5
; %bb.4:
	v_cvt_f32_u32_e32 v1, s10
	s_sub_i32 s2, 0, s10
	v_mov_b32_e32 v3, 0
	v_rcp_iflag_f32_e32 v1, v1
	v_mul_f32_e32 v1, 0x4f7ffffe, v1
	v_cvt_u32_f32_e32 v1, v1
	v_mul_lo_u32 v2, s2, v1
	v_mul_hi_u32 v2, v1, v2
	v_add_u32_e32 v1, v1, v2
	v_mul_hi_u32 v1, v0, v1
	v_mul_lo_u32 v1, v1, s10
	v_sub_u32_e32 v0, v0, v1
	v_subrev_u32_e32 v1, s10, v0
	v_cmp_le_u32_e32 vcc, s10, v0
	v_cndmask_b32_e32 v0, v0, v1, vcc
	v_subrev_u32_e32 v1, s10, v0
	v_cmp_le_u32_e32 vcc, s10, v0
	v_cndmask_b32_e32 v2, v0, v1, vcc
.LBB26_5:
	s_or_b64 exec, exec, s[0:1]
	s_load_dwordx4 s[0:3], s[4:5], 0x70
	s_load_dwordx8 s[12:19], s[4:5], 0x18
	s_load_dwordx2 s[10:11], s[4:5], 0x68
	s_waitcnt lgkmcnt(0)
	s_add_i32 s20, s1, s7
	s_sub_i32 s1, 0, s0
	s_add_i32 s13, s2, s8
	s_max_i32 s21, s1, 0
	s_max_i32 s22, s0, 0
	v_max_i32_e32 v0, s0, v2
	s_add_i32 s12, s0, s12
	s_load_dwordx2 s[8:9], s[4:5], 0x38
	s_load_dwordx4 s[0:3], s[4:5], 0x58
	s_add_i32 s12, s12, -1
	s_load_dwordx2 s[6:7], s[4:5], 0x0
	v_min_i32_e32 v0, s12, v0
	s_sub_i32 s4, s21, s22
	v_add_u32_e32 v4, s4, v0
	s_waitcnt lgkmcnt(0)
	s_mul_i32 s1, s1, s13
	s_mul_hi_u32 s4, s0, s13
	s_add_i32 s1, s4, s1
	s_mul_i32 s0, s0, s13
	s_lshl_b64 s[0:1], s[0:1], 3
	s_add_u32 s4, s8, s0
	s_addc_u32 s5, s9, s1
	s_mul_i32 s0, s3, s20
	s_mul_hi_u32 s1, s2, s20
	s_add_i32 s1, s1, s0
	s_mul_i32 s0, s2, s20
	v_mul_lo_u32 v5, s11, v2
	v_mul_lo_u32 v3, s10, v3
	v_mad_u64_u32 v[0:1], s[2:3], s10, v2, 0
	s_lshl_b64 s[0:1], s[0:1], 3
	s_add_u32 s0, s4, s0
	v_add3_u32 v1, v1, v3, v5
	v_lshlrev_b64 v[0:1], 3, v[0:1]
	s_addc_u32 s1, s5, s1
	v_mov_b32_e32 v2, s1
	v_add_co_u32_e32 v0, vcc, s0, v0
	s_mul_i32 s0, s15, s13
	s_mul_hi_u32 s1, s14, s13
	v_addc_co_u32_e32 v1, vcc, v2, v1, vcc
	s_add_i32 s1, s1, s0
	s_mul_i32 s0, s14, s13
	v_ashrrev_i32_e32 v2, 31, v4
	s_lshl_b64 s[0:1], s[0:1], 3
	v_mul_lo_u32 v5, s18, v2
	v_mul_lo_u32 v6, s19, v4
	v_mad_u64_u32 v[2:3], s[2:3], s18, v4, 0
	s_add_u32 s4, s6, s0
	s_addc_u32 s5, s7, s1
	s_mul_i32 s0, s17, s20
	s_mul_hi_u32 s1, s16, s20
	s_add_i32 s1, s1, s0
	s_mul_i32 s0, s16, s20
	s_lshl_b64 s[0:1], s[0:1], 3
	v_add3_u32 v3, v3, v5, v6
	s_add_u32 s0, s4, s0
	v_lshlrev_b64 v[2:3], 3, v[2:3]
	s_addc_u32 s1, s5, s1
	v_mov_b32_e32 v4, s1
	v_add_co_u32_e32 v2, vcc, s0, v2
	v_addc_co_u32_e32 v3, vcc, v4, v3, vcc
	global_load_dwordx2 v[0:1], v[0:1], off
	s_mov_b64 s[0:1], 0
	global_load_dword v5, v[2:3], off
.LBB26_6:                               ; =>This Inner Loop Header: Depth=1
	s_waitcnt vmcnt(0)
	v_add_f32_e32 v4, v5, v0
	global_atomic_cmpswap v4, v[2:3], v[4:5], off glc
	s_waitcnt vmcnt(0)
	v_cmp_eq_u32_e32 vcc, v4, v5
	s_or_b64 s[0:1], vcc, s[0:1]
	v_mov_b32_e32 v5, v4
	s_andn2_b64 exec, exec, s[0:1]
	s_cbranch_execnz .LBB26_6
; %bb.7:
	s_or_b64 exec, exec, s[0:1]
	global_load_dword v5, v[2:3], off offset:4
	s_mov_b64 s[0:1], 0
.LBB26_8:                               ; =>This Inner Loop Header: Depth=1
	s_waitcnt vmcnt(0)
	v_add_f32_e32 v4, v5, v1
	global_atomic_cmpswap v0, v[2:3], v[4:5], off offset:4 glc
	s_waitcnt vmcnt(0)
	v_cmp_eq_u32_e32 vcc, v0, v5
	s_or_b64 s[0:1], vcc, s[0:1]
	v_mov_b32_e32 v5, v0
	s_andn2_b64 exec, exec, s[0:1]
	s_cbranch_execnz .LBB26_8
.LBB26_9:
	s_endpgm
	.section	.rodata,"a",@progbits
	.p2align	6, 0x0
	.amdhsa_kernel _ZN2at6native12_GLOBAL__N_131replication_pad_backward_kernelIN3c107complexIfEEEEvN5torch10headeronly6detail27GenericPackedTensorAccessorINS8_14TensorAccessorINS3_8ArrayRefIlEET_Lm2ENS7_16DefaultPtrTraitsElEENS_6detail16IndexBoundsCheckILm3ElEESD_Lm3ESE_lEENS9_INSA_ISC_KSD_Lm2ESE_lEESI_SK_Lm3ESE_lEEiii
		.amdhsa_group_segment_fixed_size 0
		.amdhsa_private_segment_fixed_size 0
		.amdhsa_kernarg_size 384
		.amdhsa_user_sgpr_count 6
		.amdhsa_user_sgpr_private_segment_buffer 1
		.amdhsa_user_sgpr_dispatch_ptr 0
		.amdhsa_user_sgpr_queue_ptr 0
		.amdhsa_user_sgpr_kernarg_segment_ptr 1
		.amdhsa_user_sgpr_dispatch_id 0
		.amdhsa_user_sgpr_flat_scratch_init 0
		.amdhsa_user_sgpr_private_segment_size 0
		.amdhsa_uses_dynamic_stack 0
		.amdhsa_system_sgpr_private_segment_wavefront_offset 0
		.amdhsa_system_sgpr_workgroup_id_x 1
		.amdhsa_system_sgpr_workgroup_id_y 1
		.amdhsa_system_sgpr_workgroup_id_z 1
		.amdhsa_system_sgpr_workgroup_info 0
		.amdhsa_system_vgpr_workitem_id 0
		.amdhsa_next_free_vgpr 9
		.amdhsa_next_free_sgpr 23
		.amdhsa_reserve_vcc 1
		.amdhsa_reserve_flat_scratch 0
		.amdhsa_float_round_mode_32 0
		.amdhsa_float_round_mode_16_64 0
		.amdhsa_float_denorm_mode_32 3
		.amdhsa_float_denorm_mode_16_64 3
		.amdhsa_dx10_clamp 1
		.amdhsa_ieee_mode 1
		.amdhsa_fp16_overflow 0
		.amdhsa_exception_fp_ieee_invalid_op 0
		.amdhsa_exception_fp_denorm_src 0
		.amdhsa_exception_fp_ieee_div_zero 0
		.amdhsa_exception_fp_ieee_overflow 0
		.amdhsa_exception_fp_ieee_underflow 0
		.amdhsa_exception_fp_ieee_inexact 0
		.amdhsa_exception_int_div_zero 0
	.end_amdhsa_kernel
	.section	.text._ZN2at6native12_GLOBAL__N_131replication_pad_backward_kernelIN3c107complexIfEEEEvN5torch10headeronly6detail27GenericPackedTensorAccessorINS8_14TensorAccessorINS3_8ArrayRefIlEET_Lm2ENS7_16DefaultPtrTraitsElEENS_6detail16IndexBoundsCheckILm3ElEESD_Lm3ESE_lEENS9_INSA_ISC_KSD_Lm2ESE_lEESI_SK_Lm3ESE_lEEiii,"axG",@progbits,_ZN2at6native12_GLOBAL__N_131replication_pad_backward_kernelIN3c107complexIfEEEEvN5torch10headeronly6detail27GenericPackedTensorAccessorINS8_14TensorAccessorINS3_8ArrayRefIlEET_Lm2ENS7_16DefaultPtrTraitsElEENS_6detail16IndexBoundsCheckILm3ElEESD_Lm3ESE_lEENS9_INSA_ISC_KSD_Lm2ESE_lEESI_SK_Lm3ESE_lEEiii,comdat
.Lfunc_end26:
	.size	_ZN2at6native12_GLOBAL__N_131replication_pad_backward_kernelIN3c107complexIfEEEEvN5torch10headeronly6detail27GenericPackedTensorAccessorINS8_14TensorAccessorINS3_8ArrayRefIlEET_Lm2ENS7_16DefaultPtrTraitsElEENS_6detail16IndexBoundsCheckILm3ElEESD_Lm3ESE_lEENS9_INSA_ISC_KSD_Lm2ESE_lEESI_SK_Lm3ESE_lEEiii, .Lfunc_end26-_ZN2at6native12_GLOBAL__N_131replication_pad_backward_kernelIN3c107complexIfEEEEvN5torch10headeronly6detail27GenericPackedTensorAccessorINS8_14TensorAccessorINS3_8ArrayRefIlEET_Lm2ENS7_16DefaultPtrTraitsElEENS_6detail16IndexBoundsCheckILm3ElEESD_Lm3ESE_lEENS9_INSA_ISC_KSD_Lm2ESE_lEESI_SK_Lm3ESE_lEEiii
                                        ; -- End function
	.set _ZN2at6native12_GLOBAL__N_131replication_pad_backward_kernelIN3c107complexIfEEEEvN5torch10headeronly6detail27GenericPackedTensorAccessorINS8_14TensorAccessorINS3_8ArrayRefIlEET_Lm2ENS7_16DefaultPtrTraitsElEENS_6detail16IndexBoundsCheckILm3ElEESD_Lm3ESE_lEENS9_INSA_ISC_KSD_Lm2ESE_lEESI_SK_Lm3ESE_lEEiii.num_vgpr, 9
	.set _ZN2at6native12_GLOBAL__N_131replication_pad_backward_kernelIN3c107complexIfEEEEvN5torch10headeronly6detail27GenericPackedTensorAccessorINS8_14TensorAccessorINS3_8ArrayRefIlEET_Lm2ENS7_16DefaultPtrTraitsElEENS_6detail16IndexBoundsCheckILm3ElEESD_Lm3ESE_lEENS9_INSA_ISC_KSD_Lm2ESE_lEESI_SK_Lm3ESE_lEEiii.num_agpr, 0
	.set _ZN2at6native12_GLOBAL__N_131replication_pad_backward_kernelIN3c107complexIfEEEEvN5torch10headeronly6detail27GenericPackedTensorAccessorINS8_14TensorAccessorINS3_8ArrayRefIlEET_Lm2ENS7_16DefaultPtrTraitsElEENS_6detail16IndexBoundsCheckILm3ElEESD_Lm3ESE_lEENS9_INSA_ISC_KSD_Lm2ESE_lEESI_SK_Lm3ESE_lEEiii.numbered_sgpr, 23
	.set _ZN2at6native12_GLOBAL__N_131replication_pad_backward_kernelIN3c107complexIfEEEEvN5torch10headeronly6detail27GenericPackedTensorAccessorINS8_14TensorAccessorINS3_8ArrayRefIlEET_Lm2ENS7_16DefaultPtrTraitsElEENS_6detail16IndexBoundsCheckILm3ElEESD_Lm3ESE_lEENS9_INSA_ISC_KSD_Lm2ESE_lEESI_SK_Lm3ESE_lEEiii.num_named_barrier, 0
	.set _ZN2at6native12_GLOBAL__N_131replication_pad_backward_kernelIN3c107complexIfEEEEvN5torch10headeronly6detail27GenericPackedTensorAccessorINS8_14TensorAccessorINS3_8ArrayRefIlEET_Lm2ENS7_16DefaultPtrTraitsElEENS_6detail16IndexBoundsCheckILm3ElEESD_Lm3ESE_lEENS9_INSA_ISC_KSD_Lm2ESE_lEESI_SK_Lm3ESE_lEEiii.private_seg_size, 0
	.set _ZN2at6native12_GLOBAL__N_131replication_pad_backward_kernelIN3c107complexIfEEEEvN5torch10headeronly6detail27GenericPackedTensorAccessorINS8_14TensorAccessorINS3_8ArrayRefIlEET_Lm2ENS7_16DefaultPtrTraitsElEENS_6detail16IndexBoundsCheckILm3ElEESD_Lm3ESE_lEENS9_INSA_ISC_KSD_Lm2ESE_lEESI_SK_Lm3ESE_lEEiii.uses_vcc, 1
	.set _ZN2at6native12_GLOBAL__N_131replication_pad_backward_kernelIN3c107complexIfEEEEvN5torch10headeronly6detail27GenericPackedTensorAccessorINS8_14TensorAccessorINS3_8ArrayRefIlEET_Lm2ENS7_16DefaultPtrTraitsElEENS_6detail16IndexBoundsCheckILm3ElEESD_Lm3ESE_lEENS9_INSA_ISC_KSD_Lm2ESE_lEESI_SK_Lm3ESE_lEEiii.uses_flat_scratch, 0
	.set _ZN2at6native12_GLOBAL__N_131replication_pad_backward_kernelIN3c107complexIfEEEEvN5torch10headeronly6detail27GenericPackedTensorAccessorINS8_14TensorAccessorINS3_8ArrayRefIlEET_Lm2ENS7_16DefaultPtrTraitsElEENS_6detail16IndexBoundsCheckILm3ElEESD_Lm3ESE_lEENS9_INSA_ISC_KSD_Lm2ESE_lEESI_SK_Lm3ESE_lEEiii.has_dyn_sized_stack, 0
	.set _ZN2at6native12_GLOBAL__N_131replication_pad_backward_kernelIN3c107complexIfEEEEvN5torch10headeronly6detail27GenericPackedTensorAccessorINS8_14TensorAccessorINS3_8ArrayRefIlEET_Lm2ENS7_16DefaultPtrTraitsElEENS_6detail16IndexBoundsCheckILm3ElEESD_Lm3ESE_lEENS9_INSA_ISC_KSD_Lm2ESE_lEESI_SK_Lm3ESE_lEEiii.has_recursion, 0
	.set _ZN2at6native12_GLOBAL__N_131replication_pad_backward_kernelIN3c107complexIfEEEEvN5torch10headeronly6detail27GenericPackedTensorAccessorINS8_14TensorAccessorINS3_8ArrayRefIlEET_Lm2ENS7_16DefaultPtrTraitsElEENS_6detail16IndexBoundsCheckILm3ElEESD_Lm3ESE_lEENS9_INSA_ISC_KSD_Lm2ESE_lEESI_SK_Lm3ESE_lEEiii.has_indirect_call, 0
	.section	.AMDGPU.csdata,"",@progbits
; Kernel info:
; codeLenInByte = 1168
; TotalNumSgprs: 27
; NumVgprs: 9
; ScratchSize: 0
; MemoryBound: 0
; FloatMode: 240
; IeeeMode: 1
; LDSByteSize: 0 bytes/workgroup (compile time only)
; SGPRBlocks: 3
; VGPRBlocks: 2
; NumSGPRsForWavesPerEU: 27
; NumVGPRsForWavesPerEU: 9
; Occupancy: 10
; WaveLimiterHint : 1
; COMPUTE_PGM_RSRC2:SCRATCH_EN: 0
; COMPUTE_PGM_RSRC2:USER_SGPR: 6
; COMPUTE_PGM_RSRC2:TRAP_HANDLER: 0
; COMPUTE_PGM_RSRC2:TGID_X_EN: 1
; COMPUTE_PGM_RSRC2:TGID_Y_EN: 1
; COMPUTE_PGM_RSRC2:TGID_Z_EN: 1
; COMPUTE_PGM_RSRC2:TIDIG_COMP_CNT: 0
	.section	.text._ZN2at6native12_GLOBAL__N_131replication_pad_backward_kernelIN3c104HalfEEEvN5torch10headeronly6detail27GenericPackedTensorAccessorINS7_14TensorAccessorINS3_8ArrayRefIlEET_Lm2ENS6_16DefaultPtrTraitsElEENS_6detail16IndexBoundsCheckILm3ElEESC_Lm3ESD_lEENS8_INS9_ISB_KSC_Lm2ESD_lEESH_SJ_Lm3ESD_lEEiii,"axG",@progbits,_ZN2at6native12_GLOBAL__N_131replication_pad_backward_kernelIN3c104HalfEEEvN5torch10headeronly6detail27GenericPackedTensorAccessorINS7_14TensorAccessorINS3_8ArrayRefIlEET_Lm2ENS6_16DefaultPtrTraitsElEENS_6detail16IndexBoundsCheckILm3ElEESC_Lm3ESD_lEENS8_INS9_ISB_KSC_Lm2ESD_lEESH_SJ_Lm3ESD_lEEiii,comdat
	.globl	_ZN2at6native12_GLOBAL__N_131replication_pad_backward_kernelIN3c104HalfEEEvN5torch10headeronly6detail27GenericPackedTensorAccessorINS7_14TensorAccessorINS3_8ArrayRefIlEET_Lm2ENS6_16DefaultPtrTraitsElEENS_6detail16IndexBoundsCheckILm3ElEESC_Lm3ESD_lEENS8_INS9_ISB_KSC_Lm2ESD_lEESH_SJ_Lm3ESD_lEEiii ; -- Begin function _ZN2at6native12_GLOBAL__N_131replication_pad_backward_kernelIN3c104HalfEEEvN5torch10headeronly6detail27GenericPackedTensorAccessorINS7_14TensorAccessorINS3_8ArrayRefIlEET_Lm2ENS6_16DefaultPtrTraitsElEENS_6detail16IndexBoundsCheckILm3ElEESC_Lm3ESD_lEENS8_INS9_ISB_KSC_Lm2ESD_lEESH_SJ_Lm3ESD_lEEiii
	.p2align	8
	.type	_ZN2at6native12_GLOBAL__N_131replication_pad_backward_kernelIN3c104HalfEEEvN5torch10headeronly6detail27GenericPackedTensorAccessorINS7_14TensorAccessorINS3_8ArrayRefIlEET_Lm2ENS6_16DefaultPtrTraitsElEENS_6detail16IndexBoundsCheckILm3ElEESC_Lm3ESD_lEENS8_INS9_ISB_KSC_Lm2ESD_lEESH_SJ_Lm3ESD_lEEiii,@function
_ZN2at6native12_GLOBAL__N_131replication_pad_backward_kernelIN3c104HalfEEEvN5torch10headeronly6detail27GenericPackedTensorAccessorINS7_14TensorAccessorINS3_8ArrayRefIlEET_Lm2ENS6_16DefaultPtrTraitsElEENS_6detail16IndexBoundsCheckILm3ElEESC_Lm3ESD_lEENS8_INS9_ISB_KSC_Lm2ESD_lEESH_SJ_Lm3ESD_lEEiii: ; @_ZN2at6native12_GLOBAL__N_131replication_pad_backward_kernelIN3c104HalfEEEvN5torch10headeronly6detail27GenericPackedTensorAccessorINS7_14TensorAccessorINS3_8ArrayRefIlEET_Lm2ENS6_16DefaultPtrTraitsElEENS_6detail16IndexBoundsCheckILm3ElEESC_Lm3ESD_lEENS8_INS9_ISB_KSC_Lm2ESD_lEESH_SJ_Lm3ESD_lEEiii
; %bb.0:
	s_load_dword s0, s[4:5], 0x8c
	s_load_dwordx2 s[10:11], s[4:5], 0x50
	v_mov_b32_e32 v2, 0
	v_mov_b32_e32 v1, v2
	;; [unrolled: 1-line block ×3, first 2 shown]
	s_waitcnt lgkmcnt(0)
	s_and_b32 s0, s0, 0xffff
	v_mad_u64_u32 v[0:1], s[0:1], s0, v3, v[0:1]
	v_cmp_gt_i64_e32 vcc, s[10:11], v[0:1]
	s_and_saveexec_b64 s[0:1], vcc
	s_cbranch_execz .LBB27_11
; %bb.1:
	v_or_b32_e32 v3, s11, v1
	v_cmp_ne_u64_e32 vcc, 0, v[2:3]
                                        ; implicit-def: $vgpr2_vgpr3
	s_and_saveexec_b64 s[0:1], vcc
	s_xor_b64 s[12:13], exec, s[0:1]
	s_cbranch_execz .LBB27_3
; %bb.2:
	v_cvt_f32_u32_e32 v2, s10
	v_cvt_f32_u32_e32 v3, s11
	s_sub_u32 s2, 0, s10
	s_subb_u32 s3, 0, s11
	v_madmk_f32 v2, v3, 0x4f800000, v2
	v_rcp_f32_e32 v2, v2
	v_mul_f32_e32 v2, 0x5f7ffffc, v2
	v_mul_f32_e32 v3, 0x2f800000, v2
	v_trunc_f32_e32 v3, v3
	v_madmk_f32 v2, v3, 0xcf800000, v2
	v_cvt_u32_f32_e32 v3, v3
	v_cvt_u32_f32_e32 v2, v2
	v_readfirstlane_b32 s6, v3
	v_readfirstlane_b32 s0, v2
	s_mul_i32 s1, s2, s6
	s_mul_hi_u32 s14, s2, s0
	s_mul_i32 s9, s3, s0
	s_add_i32 s1, s14, s1
	s_mul_i32 s15, s2, s0
	s_add_i32 s1, s1, s9
	s_mul_i32 s14, s0, s1
	s_mul_hi_u32 s16, s0, s15
	s_mul_hi_u32 s9, s0, s1
	s_add_u32 s14, s16, s14
	s_addc_u32 s9, 0, s9
	s_mul_hi_u32 s17, s6, s15
	s_mul_i32 s15, s6, s15
	s_add_u32 s14, s14, s15
	s_mul_hi_u32 s16, s6, s1
	s_addc_u32 s9, s9, s17
	s_addc_u32 s14, s16, 0
	s_mul_i32 s1, s6, s1
	s_add_u32 s1, s9, s1
	s_addc_u32 s9, 0, s14
	s_add_u32 s14, s0, s1
	s_cselect_b64 s[0:1], -1, 0
	s_cmp_lg_u64 s[0:1], 0
	s_addc_u32 s6, s6, s9
	s_mul_i32 s0, s2, s6
	s_mul_hi_u32 s1, s2, s14
	s_add_i32 s0, s1, s0
	s_mul_i32 s3, s3, s14
	s_add_i32 s0, s0, s3
	s_mul_i32 s2, s2, s14
	s_mul_hi_u32 s3, s6, s2
	s_mul_i32 s9, s6, s2
	s_mul_i32 s16, s14, s0
	s_mul_hi_u32 s2, s14, s2
	s_mul_hi_u32 s15, s14, s0
	s_add_u32 s2, s2, s16
	s_addc_u32 s15, 0, s15
	s_add_u32 s2, s2, s9
	s_mul_hi_u32 s1, s6, s0
	s_addc_u32 s2, s15, s3
	s_addc_u32 s1, s1, 0
	s_mul_i32 s0, s6, s0
	s_add_u32 s0, s2, s0
	s_addc_u32 s2, 0, s1
	s_add_u32 s3, s14, s0
	s_cselect_b64 s[0:1], -1, 0
	s_cmp_lg_u64 s[0:1], 0
	s_addc_u32 s2, s6, s2
	v_mad_u64_u32 v[2:3], s[0:1], v0, s2, 0
	v_mul_hi_u32 v4, v0, s3
	v_add_co_u32_e32 v6, vcc, v4, v2
	v_addc_co_u32_e32 v7, vcc, 0, v3, vcc
	v_mad_u64_u32 v[2:3], s[0:1], v1, s3, 0
	v_mad_u64_u32 v[4:5], s[0:1], v1, s2, 0
	v_add_co_u32_e32 v2, vcc, v6, v2
	v_addc_co_u32_e32 v2, vcc, v7, v3, vcc
	v_addc_co_u32_e32 v3, vcc, 0, v5, vcc
	v_add_co_u32_e32 v2, vcc, v2, v4
	v_addc_co_u32_e32 v3, vcc, 0, v3, vcc
	v_mul_lo_u32 v4, s11, v2
	v_mul_lo_u32 v5, s10, v3
	v_mad_u64_u32 v[2:3], s[0:1], s10, v2, 0
	v_add3_u32 v3, v3, v5, v4
	v_sub_u32_e32 v4, v1, v3
	v_mov_b32_e32 v5, s11
	v_sub_co_u32_e32 v0, vcc, v0, v2
	v_subb_co_u32_e64 v2, s[0:1], v4, v5, vcc
	v_subrev_co_u32_e64 v4, s[0:1], s10, v0
	v_subbrev_co_u32_e64 v6, s[2:3], 0, v2, s[0:1]
	v_cmp_le_u32_e64 s[2:3], s11, v6
	v_cndmask_b32_e64 v7, 0, -1, s[2:3]
	v_cmp_le_u32_e64 s[2:3], s10, v4
	v_subb_co_u32_e64 v2, s[0:1], v2, v5, s[0:1]
	v_cndmask_b32_e64 v8, 0, -1, s[2:3]
	v_cmp_eq_u32_e64 s[2:3], s11, v6
	v_subrev_co_u32_e64 v5, s[0:1], s10, v4
	v_subb_co_u32_e32 v1, vcc, v1, v3, vcc
	v_cndmask_b32_e64 v7, v7, v8, s[2:3]
	v_subbrev_co_u32_e64 v2, s[0:1], 0, v2, s[0:1]
	v_cmp_le_u32_e32 vcc, s11, v1
	v_cmp_ne_u32_e64 s[0:1], 0, v7
	v_cndmask_b32_e64 v3, 0, -1, vcc
	v_cmp_le_u32_e32 vcc, s10, v0
	v_cndmask_b32_e64 v2, v6, v2, s[0:1]
	v_cndmask_b32_e64 v6, 0, -1, vcc
	v_cmp_eq_u32_e32 vcc, s11, v1
	v_cndmask_b32_e32 v3, v3, v6, vcc
	v_cmp_ne_u32_e32 vcc, 0, v3
	v_cndmask_b32_e32 v3, v1, v2, vcc
	v_cndmask_b32_e64 v1, v4, v5, s[0:1]
	v_cndmask_b32_e32 v2, v0, v1, vcc
                                        ; implicit-def: $vgpr0_vgpr1
.LBB27_3:
	s_andn2_saveexec_b64 s[0:1], s[12:13]
	s_cbranch_execz .LBB27_5
; %bb.4:
	v_cvt_f32_u32_e32 v1, s10
	s_sub_i32 s2, 0, s10
	v_mov_b32_e32 v3, 0
	v_rcp_iflag_f32_e32 v1, v1
	v_mul_f32_e32 v1, 0x4f7ffffe, v1
	v_cvt_u32_f32_e32 v1, v1
	v_mul_lo_u32 v2, s2, v1
	v_mul_hi_u32 v2, v1, v2
	v_add_u32_e32 v1, v1, v2
	v_mul_hi_u32 v1, v0, v1
	v_mul_lo_u32 v1, v1, s10
	v_sub_u32_e32 v0, v0, v1
	v_subrev_u32_e32 v1, s10, v0
	v_cmp_le_u32_e32 vcc, s10, v0
	v_cndmask_b32_e32 v0, v0, v1, vcc
	v_subrev_u32_e32 v1, s10, v0
	v_cmp_le_u32_e32 vcc, s10, v0
	v_cndmask_b32_e32 v2, v0, v1, vcc
.LBB27_5:
	s_or_b64 exec, exec, s[0:1]
	s_load_dwordx4 s[0:3], s[4:5], 0x70
	s_load_dwordx8 s[12:19], s[4:5], 0x18
	s_load_dwordx2 s[10:11], s[4:5], 0x68
	v_mov_b32_e32 v6, 0
	s_waitcnt lgkmcnt(0)
	s_add_i32 s20, s1, s7
	s_sub_i32 s1, 0, s0
	s_add_i32 s13, s2, s8
	s_max_i32 s21, s1, 0
	s_max_i32 s22, s0, 0
	v_max_i32_e32 v0, s0, v2
	s_add_i32 s12, s0, s12
	s_load_dwordx2 s[8:9], s[4:5], 0x38
	s_load_dwordx4 s[0:3], s[4:5], 0x58
	s_add_i32 s12, s12, -1
	s_load_dwordx2 s[6:7], s[4:5], 0x0
	v_min_i32_e32 v0, s12, v0
	s_sub_i32 s4, s21, s22
	v_add_u32_e32 v5, s4, v0
	s_waitcnt lgkmcnt(0)
	s_mul_i32 s1, s1, s13
	s_mul_hi_u32 s4, s0, s13
	s_add_i32 s1, s4, s1
	s_mul_i32 s0, s0, s13
	s_lshl_b64 s[0:1], s[0:1], 1
	s_add_u32 s4, s8, s0
	s_addc_u32 s5, s9, s1
	s_mul_i32 s0, s3, s20
	s_mul_hi_u32 s1, s2, s20
	s_add_i32 s1, s1, s0
	s_mul_i32 s0, s2, s20
	v_mul_lo_u32 v4, s11, v2
	v_mul_lo_u32 v3, s10, v3
	v_mad_u64_u32 v[0:1], s[2:3], s10, v2, 0
	s_lshl_b64 s[0:1], s[0:1], 1
	s_add_u32 s0, s4, s0
	v_add3_u32 v1, v1, v3, v4
	v_lshlrev_b64 v[0:1], 1, v[0:1]
	s_addc_u32 s1, s5, s1
	v_mov_b32_e32 v2, s1
	v_add_co_u32_e32 v0, vcc, s0, v0
	v_addc_co_u32_e32 v1, vcc, v2, v1, vcc
	s_mul_i32 s0, s15, s13
	s_mul_hi_u32 s1, s14, s13
	global_load_ushort v4, v[0:1], off
	s_add_i32 s1, s1, s0
	s_mul_i32 s0, s14, s13
	v_ashrrev_i32_e32 v0, 31, v5
	s_lshl_b64 s[0:1], s[0:1], 1
	v_mul_lo_u32 v2, s18, v0
	v_mul_lo_u32 v3, s19, v5
	v_mad_u64_u32 v[0:1], s[2:3], s18, v5, 0
	s_add_u32 s4, s6, s0
	s_addc_u32 s5, s7, s1
	s_mul_i32 s0, s17, s20
	s_mul_hi_u32 s1, s16, s20
	s_add_i32 s1, s1, s0
	s_mul_i32 s0, s16, s20
	s_lshl_b64 s[0:1], s[0:1], 1
	v_add3_u32 v1, v1, v2, v3
	s_add_u32 s0, s4, s0
	v_lshlrev_b64 v[0:1], 1, v[0:1]
	s_addc_u32 s1, s5, s1
	v_mov_b32_e32 v2, s1
	v_add_co_u32_e32 v0, vcc, s0, v0
	v_addc_co_u32_e32 v1, vcc, v2, v1, vcc
	v_and_b32_e32 v5, 2, v0
	v_sub_co_u32_e32 v2, vcc, 0, v5
	v_subb_co_u32_e64 v3, s[0:1], 0, 0, vcc
	v_add_co_u32_e32 v0, vcc, v0, v2
	v_addc_co_u32_e32 v1, vcc, v1, v3, vcc
	global_load_dword v3, v[0:1], off
	v_cmp_eq_u64_e32 vcc, 0, v[5:6]
	s_mov_b64 s[4:5], 0
	v_cmp_ne_u32_e64 s[0:1], 0, v5
	s_mov_b32 s6, 0xffff0000
	s_branch .LBB27_7
.LBB27_6:                               ;   in Loop: Header=BB27_7 Depth=1
	s_or_b64 exec, exec, s[2:3]
	global_atomic_cmpswap v2, v[0:1], v[2:3], off glc
	s_waitcnt vmcnt(0)
	v_cmp_eq_u32_e64 s[2:3], v3, v2
	s_or_b64 s[4:5], s[2:3], s[4:5]
	v_mov_b32_e32 v3, v2
	s_andn2_b64 exec, exec, s[4:5]
	s_cbranch_execz .LBB27_11
.LBB27_7:                               ; =>This Inner Loop Header: Depth=1
	s_waitcnt vmcnt(0)
	v_cndmask_b32_sdwa v2, v3, v3, vcc dst_sel:DWORD dst_unused:UNUSED_PAD src0_sel:WORD_1 src1_sel:DWORD
	v_add_f16_e32 v5, v4, v2
	s_and_saveexec_b64 s[2:3], s[0:1]
	s_xor_b64 s[2:3], exec, s[2:3]
; %bb.8:                                ;   in Loop: Header=BB27_7 Depth=1
	v_and_b32_e32 v2, 0xffff, v3
	v_lshl_or_b32 v2, v5, 16, v2
                                        ; implicit-def: $vgpr5
; %bb.9:                                ;   in Loop: Header=BB27_7 Depth=1
	s_andn2_saveexec_b64 s[2:3], s[2:3]
	s_cbranch_execz .LBB27_6
; %bb.10:                               ;   in Loop: Header=BB27_7 Depth=1
	v_and_or_b32 v2, v3, s6, v5
	s_branch .LBB27_6
.LBB27_11:
	s_endpgm
	.section	.rodata,"a",@progbits
	.p2align	6, 0x0
	.amdhsa_kernel _ZN2at6native12_GLOBAL__N_131replication_pad_backward_kernelIN3c104HalfEEEvN5torch10headeronly6detail27GenericPackedTensorAccessorINS7_14TensorAccessorINS3_8ArrayRefIlEET_Lm2ENS6_16DefaultPtrTraitsElEENS_6detail16IndexBoundsCheckILm3ElEESC_Lm3ESD_lEENS8_INS9_ISB_KSC_Lm2ESD_lEESH_SJ_Lm3ESD_lEEiii
		.amdhsa_group_segment_fixed_size 0
		.amdhsa_private_segment_fixed_size 0
		.amdhsa_kernarg_size 384
		.amdhsa_user_sgpr_count 6
		.amdhsa_user_sgpr_private_segment_buffer 1
		.amdhsa_user_sgpr_dispatch_ptr 0
		.amdhsa_user_sgpr_queue_ptr 0
		.amdhsa_user_sgpr_kernarg_segment_ptr 1
		.amdhsa_user_sgpr_dispatch_id 0
		.amdhsa_user_sgpr_flat_scratch_init 0
		.amdhsa_user_sgpr_private_segment_size 0
		.amdhsa_uses_dynamic_stack 0
		.amdhsa_system_sgpr_private_segment_wavefront_offset 0
		.amdhsa_system_sgpr_workgroup_id_x 1
		.amdhsa_system_sgpr_workgroup_id_y 1
		.amdhsa_system_sgpr_workgroup_id_z 1
		.amdhsa_system_sgpr_workgroup_info 0
		.amdhsa_system_vgpr_workitem_id 0
		.amdhsa_next_free_vgpr 9
		.amdhsa_next_free_sgpr 23
		.amdhsa_reserve_vcc 1
		.amdhsa_reserve_flat_scratch 0
		.amdhsa_float_round_mode_32 0
		.amdhsa_float_round_mode_16_64 0
		.amdhsa_float_denorm_mode_32 3
		.amdhsa_float_denorm_mode_16_64 3
		.amdhsa_dx10_clamp 1
		.amdhsa_ieee_mode 1
		.amdhsa_fp16_overflow 0
		.amdhsa_exception_fp_ieee_invalid_op 0
		.amdhsa_exception_fp_denorm_src 0
		.amdhsa_exception_fp_ieee_div_zero 0
		.amdhsa_exception_fp_ieee_overflow 0
		.amdhsa_exception_fp_ieee_underflow 0
		.amdhsa_exception_fp_ieee_inexact 0
		.amdhsa_exception_int_div_zero 0
	.end_amdhsa_kernel
	.section	.text._ZN2at6native12_GLOBAL__N_131replication_pad_backward_kernelIN3c104HalfEEEvN5torch10headeronly6detail27GenericPackedTensorAccessorINS7_14TensorAccessorINS3_8ArrayRefIlEET_Lm2ENS6_16DefaultPtrTraitsElEENS_6detail16IndexBoundsCheckILm3ElEESC_Lm3ESD_lEENS8_INS9_ISB_KSC_Lm2ESD_lEESH_SJ_Lm3ESD_lEEiii,"axG",@progbits,_ZN2at6native12_GLOBAL__N_131replication_pad_backward_kernelIN3c104HalfEEEvN5torch10headeronly6detail27GenericPackedTensorAccessorINS7_14TensorAccessorINS3_8ArrayRefIlEET_Lm2ENS6_16DefaultPtrTraitsElEENS_6detail16IndexBoundsCheckILm3ElEESC_Lm3ESD_lEENS8_INS9_ISB_KSC_Lm2ESD_lEESH_SJ_Lm3ESD_lEEiii,comdat
.Lfunc_end27:
	.size	_ZN2at6native12_GLOBAL__N_131replication_pad_backward_kernelIN3c104HalfEEEvN5torch10headeronly6detail27GenericPackedTensorAccessorINS7_14TensorAccessorINS3_8ArrayRefIlEET_Lm2ENS6_16DefaultPtrTraitsElEENS_6detail16IndexBoundsCheckILm3ElEESC_Lm3ESD_lEENS8_INS9_ISB_KSC_Lm2ESD_lEESH_SJ_Lm3ESD_lEEiii, .Lfunc_end27-_ZN2at6native12_GLOBAL__N_131replication_pad_backward_kernelIN3c104HalfEEEvN5torch10headeronly6detail27GenericPackedTensorAccessorINS7_14TensorAccessorINS3_8ArrayRefIlEET_Lm2ENS6_16DefaultPtrTraitsElEENS_6detail16IndexBoundsCheckILm3ElEESC_Lm3ESD_lEENS8_INS9_ISB_KSC_Lm2ESD_lEESH_SJ_Lm3ESD_lEEiii
                                        ; -- End function
	.set _ZN2at6native12_GLOBAL__N_131replication_pad_backward_kernelIN3c104HalfEEEvN5torch10headeronly6detail27GenericPackedTensorAccessorINS7_14TensorAccessorINS3_8ArrayRefIlEET_Lm2ENS6_16DefaultPtrTraitsElEENS_6detail16IndexBoundsCheckILm3ElEESC_Lm3ESD_lEENS8_INS9_ISB_KSC_Lm2ESD_lEESH_SJ_Lm3ESD_lEEiii.num_vgpr, 9
	.set _ZN2at6native12_GLOBAL__N_131replication_pad_backward_kernelIN3c104HalfEEEvN5torch10headeronly6detail27GenericPackedTensorAccessorINS7_14TensorAccessorINS3_8ArrayRefIlEET_Lm2ENS6_16DefaultPtrTraitsElEENS_6detail16IndexBoundsCheckILm3ElEESC_Lm3ESD_lEENS8_INS9_ISB_KSC_Lm2ESD_lEESH_SJ_Lm3ESD_lEEiii.num_agpr, 0
	.set _ZN2at6native12_GLOBAL__N_131replication_pad_backward_kernelIN3c104HalfEEEvN5torch10headeronly6detail27GenericPackedTensorAccessorINS7_14TensorAccessorINS3_8ArrayRefIlEET_Lm2ENS6_16DefaultPtrTraitsElEENS_6detail16IndexBoundsCheckILm3ElEESC_Lm3ESD_lEENS8_INS9_ISB_KSC_Lm2ESD_lEESH_SJ_Lm3ESD_lEEiii.numbered_sgpr, 23
	.set _ZN2at6native12_GLOBAL__N_131replication_pad_backward_kernelIN3c104HalfEEEvN5torch10headeronly6detail27GenericPackedTensorAccessorINS7_14TensorAccessorINS3_8ArrayRefIlEET_Lm2ENS6_16DefaultPtrTraitsElEENS_6detail16IndexBoundsCheckILm3ElEESC_Lm3ESD_lEENS8_INS9_ISB_KSC_Lm2ESD_lEESH_SJ_Lm3ESD_lEEiii.num_named_barrier, 0
	.set _ZN2at6native12_GLOBAL__N_131replication_pad_backward_kernelIN3c104HalfEEEvN5torch10headeronly6detail27GenericPackedTensorAccessorINS7_14TensorAccessorINS3_8ArrayRefIlEET_Lm2ENS6_16DefaultPtrTraitsElEENS_6detail16IndexBoundsCheckILm3ElEESC_Lm3ESD_lEENS8_INS9_ISB_KSC_Lm2ESD_lEESH_SJ_Lm3ESD_lEEiii.private_seg_size, 0
	.set _ZN2at6native12_GLOBAL__N_131replication_pad_backward_kernelIN3c104HalfEEEvN5torch10headeronly6detail27GenericPackedTensorAccessorINS7_14TensorAccessorINS3_8ArrayRefIlEET_Lm2ENS6_16DefaultPtrTraitsElEENS_6detail16IndexBoundsCheckILm3ElEESC_Lm3ESD_lEENS8_INS9_ISB_KSC_Lm2ESD_lEESH_SJ_Lm3ESD_lEEiii.uses_vcc, 1
	.set _ZN2at6native12_GLOBAL__N_131replication_pad_backward_kernelIN3c104HalfEEEvN5torch10headeronly6detail27GenericPackedTensorAccessorINS7_14TensorAccessorINS3_8ArrayRefIlEET_Lm2ENS6_16DefaultPtrTraitsElEENS_6detail16IndexBoundsCheckILm3ElEESC_Lm3ESD_lEENS8_INS9_ISB_KSC_Lm2ESD_lEESH_SJ_Lm3ESD_lEEiii.uses_flat_scratch, 0
	.set _ZN2at6native12_GLOBAL__N_131replication_pad_backward_kernelIN3c104HalfEEEvN5torch10headeronly6detail27GenericPackedTensorAccessorINS7_14TensorAccessorINS3_8ArrayRefIlEET_Lm2ENS6_16DefaultPtrTraitsElEENS_6detail16IndexBoundsCheckILm3ElEESC_Lm3ESD_lEENS8_INS9_ISB_KSC_Lm2ESD_lEESH_SJ_Lm3ESD_lEEiii.has_dyn_sized_stack, 0
	.set _ZN2at6native12_GLOBAL__N_131replication_pad_backward_kernelIN3c104HalfEEEvN5torch10headeronly6detail27GenericPackedTensorAccessorINS7_14TensorAccessorINS3_8ArrayRefIlEET_Lm2ENS6_16DefaultPtrTraitsElEENS_6detail16IndexBoundsCheckILm3ElEESC_Lm3ESD_lEENS8_INS9_ISB_KSC_Lm2ESD_lEESH_SJ_Lm3ESD_lEEiii.has_recursion, 0
	.set _ZN2at6native12_GLOBAL__N_131replication_pad_backward_kernelIN3c104HalfEEEvN5torch10headeronly6detail27GenericPackedTensorAccessorINS7_14TensorAccessorINS3_8ArrayRefIlEET_Lm2ENS6_16DefaultPtrTraitsElEENS_6detail16IndexBoundsCheckILm3ElEESC_Lm3ESD_lEENS8_INS9_ISB_KSC_Lm2ESD_lEESH_SJ_Lm3ESD_lEEiii.has_indirect_call, 0
	.section	.AMDGPU.csdata,"",@progbits
; Kernel info:
; codeLenInByte = 1224
; TotalNumSgprs: 27
; NumVgprs: 9
; ScratchSize: 0
; MemoryBound: 0
; FloatMode: 240
; IeeeMode: 1
; LDSByteSize: 0 bytes/workgroup (compile time only)
; SGPRBlocks: 3
; VGPRBlocks: 2
; NumSGPRsForWavesPerEU: 27
; NumVGPRsForWavesPerEU: 9
; Occupancy: 10
; WaveLimiterHint : 1
; COMPUTE_PGM_RSRC2:SCRATCH_EN: 0
; COMPUTE_PGM_RSRC2:USER_SGPR: 6
; COMPUTE_PGM_RSRC2:TRAP_HANDLER: 0
; COMPUTE_PGM_RSRC2:TGID_X_EN: 1
; COMPUTE_PGM_RSRC2:TGID_Y_EN: 1
; COMPUTE_PGM_RSRC2:TGID_Z_EN: 1
; COMPUTE_PGM_RSRC2:TIDIG_COMP_CNT: 0
	.section	.text._ZN2at6native12_GLOBAL__N_131replication_pad_backward_kernelIN3c108BFloat16EEEvN5torch10headeronly6detail27GenericPackedTensorAccessorINS7_14TensorAccessorINS3_8ArrayRefIlEET_Lm2ENS6_16DefaultPtrTraitsElEENS_6detail16IndexBoundsCheckILm3ElEESC_Lm3ESD_lEENS8_INS9_ISB_KSC_Lm2ESD_lEESH_SJ_Lm3ESD_lEEiii,"axG",@progbits,_ZN2at6native12_GLOBAL__N_131replication_pad_backward_kernelIN3c108BFloat16EEEvN5torch10headeronly6detail27GenericPackedTensorAccessorINS7_14TensorAccessorINS3_8ArrayRefIlEET_Lm2ENS6_16DefaultPtrTraitsElEENS_6detail16IndexBoundsCheckILm3ElEESC_Lm3ESD_lEENS8_INS9_ISB_KSC_Lm2ESD_lEESH_SJ_Lm3ESD_lEEiii,comdat
	.globl	_ZN2at6native12_GLOBAL__N_131replication_pad_backward_kernelIN3c108BFloat16EEEvN5torch10headeronly6detail27GenericPackedTensorAccessorINS7_14TensorAccessorINS3_8ArrayRefIlEET_Lm2ENS6_16DefaultPtrTraitsElEENS_6detail16IndexBoundsCheckILm3ElEESC_Lm3ESD_lEENS8_INS9_ISB_KSC_Lm2ESD_lEESH_SJ_Lm3ESD_lEEiii ; -- Begin function _ZN2at6native12_GLOBAL__N_131replication_pad_backward_kernelIN3c108BFloat16EEEvN5torch10headeronly6detail27GenericPackedTensorAccessorINS7_14TensorAccessorINS3_8ArrayRefIlEET_Lm2ENS6_16DefaultPtrTraitsElEENS_6detail16IndexBoundsCheckILm3ElEESC_Lm3ESD_lEENS8_INS9_ISB_KSC_Lm2ESD_lEESH_SJ_Lm3ESD_lEEiii
	.p2align	8
	.type	_ZN2at6native12_GLOBAL__N_131replication_pad_backward_kernelIN3c108BFloat16EEEvN5torch10headeronly6detail27GenericPackedTensorAccessorINS7_14TensorAccessorINS3_8ArrayRefIlEET_Lm2ENS6_16DefaultPtrTraitsElEENS_6detail16IndexBoundsCheckILm3ElEESC_Lm3ESD_lEENS8_INS9_ISB_KSC_Lm2ESD_lEESH_SJ_Lm3ESD_lEEiii,@function
_ZN2at6native12_GLOBAL__N_131replication_pad_backward_kernelIN3c108BFloat16EEEvN5torch10headeronly6detail27GenericPackedTensorAccessorINS7_14TensorAccessorINS3_8ArrayRefIlEET_Lm2ENS6_16DefaultPtrTraitsElEENS_6detail16IndexBoundsCheckILm3ElEESC_Lm3ESD_lEENS8_INS9_ISB_KSC_Lm2ESD_lEESH_SJ_Lm3ESD_lEEiii: ; @_ZN2at6native12_GLOBAL__N_131replication_pad_backward_kernelIN3c108BFloat16EEEvN5torch10headeronly6detail27GenericPackedTensorAccessorINS7_14TensorAccessorINS3_8ArrayRefIlEET_Lm2ENS6_16DefaultPtrTraitsElEENS_6detail16IndexBoundsCheckILm3ElEESC_Lm3ESD_lEENS8_INS9_ISB_KSC_Lm2ESD_lEESH_SJ_Lm3ESD_lEEiii
; %bb.0:
	s_load_dword s0, s[4:5], 0x8c
	s_load_dwordx2 s[10:11], s[4:5], 0x50
	v_mov_b32_e32 v2, 0
	v_mov_b32_e32 v1, v2
	;; [unrolled: 1-line block ×3, first 2 shown]
	s_waitcnt lgkmcnt(0)
	s_and_b32 s0, s0, 0xffff
	v_mad_u64_u32 v[0:1], s[0:1], s0, v3, v[0:1]
	v_cmp_gt_i64_e32 vcc, s[10:11], v[0:1]
	s_and_saveexec_b64 s[0:1], vcc
	s_cbranch_execz .LBB28_7
; %bb.1:
	v_or_b32_e32 v3, s11, v1
	v_cmp_ne_u64_e32 vcc, 0, v[2:3]
                                        ; implicit-def: $vgpr2_vgpr3
	s_and_saveexec_b64 s[0:1], vcc
	s_xor_b64 s[12:13], exec, s[0:1]
	s_cbranch_execz .LBB28_3
; %bb.2:
	v_cvt_f32_u32_e32 v2, s10
	v_cvt_f32_u32_e32 v3, s11
	s_sub_u32 s2, 0, s10
	s_subb_u32 s3, 0, s11
	v_madmk_f32 v2, v3, 0x4f800000, v2
	v_rcp_f32_e32 v2, v2
	v_mul_f32_e32 v2, 0x5f7ffffc, v2
	v_mul_f32_e32 v3, 0x2f800000, v2
	v_trunc_f32_e32 v3, v3
	v_madmk_f32 v2, v3, 0xcf800000, v2
	v_cvt_u32_f32_e32 v3, v3
	v_cvt_u32_f32_e32 v2, v2
	v_readfirstlane_b32 s6, v3
	v_readfirstlane_b32 s0, v2
	s_mul_i32 s1, s2, s6
	s_mul_hi_u32 s14, s2, s0
	s_mul_i32 s9, s3, s0
	s_add_i32 s1, s14, s1
	s_mul_i32 s15, s2, s0
	s_add_i32 s1, s1, s9
	s_mul_i32 s14, s0, s1
	s_mul_hi_u32 s16, s0, s15
	s_mul_hi_u32 s9, s0, s1
	s_add_u32 s14, s16, s14
	s_addc_u32 s9, 0, s9
	s_mul_hi_u32 s17, s6, s15
	s_mul_i32 s15, s6, s15
	s_add_u32 s14, s14, s15
	s_mul_hi_u32 s16, s6, s1
	s_addc_u32 s9, s9, s17
	s_addc_u32 s14, s16, 0
	s_mul_i32 s1, s6, s1
	s_add_u32 s1, s9, s1
	s_addc_u32 s9, 0, s14
	s_add_u32 s14, s0, s1
	s_cselect_b64 s[0:1], -1, 0
	s_cmp_lg_u64 s[0:1], 0
	s_addc_u32 s6, s6, s9
	s_mul_i32 s0, s2, s6
	s_mul_hi_u32 s1, s2, s14
	s_add_i32 s0, s1, s0
	s_mul_i32 s3, s3, s14
	s_add_i32 s0, s0, s3
	s_mul_i32 s2, s2, s14
	s_mul_hi_u32 s3, s6, s2
	s_mul_i32 s9, s6, s2
	s_mul_i32 s16, s14, s0
	s_mul_hi_u32 s2, s14, s2
	s_mul_hi_u32 s15, s14, s0
	s_add_u32 s2, s2, s16
	s_addc_u32 s15, 0, s15
	s_add_u32 s2, s2, s9
	s_mul_hi_u32 s1, s6, s0
	s_addc_u32 s2, s15, s3
	s_addc_u32 s1, s1, 0
	s_mul_i32 s0, s6, s0
	s_add_u32 s0, s2, s0
	s_addc_u32 s2, 0, s1
	s_add_u32 s3, s14, s0
	s_cselect_b64 s[0:1], -1, 0
	s_cmp_lg_u64 s[0:1], 0
	s_addc_u32 s2, s6, s2
	v_mad_u64_u32 v[2:3], s[0:1], v0, s2, 0
	v_mul_hi_u32 v4, v0, s3
	v_add_co_u32_e32 v6, vcc, v4, v2
	v_addc_co_u32_e32 v7, vcc, 0, v3, vcc
	v_mad_u64_u32 v[2:3], s[0:1], v1, s3, 0
	v_mad_u64_u32 v[4:5], s[0:1], v1, s2, 0
	v_add_co_u32_e32 v2, vcc, v6, v2
	v_addc_co_u32_e32 v2, vcc, v7, v3, vcc
	v_addc_co_u32_e32 v3, vcc, 0, v5, vcc
	v_add_co_u32_e32 v2, vcc, v2, v4
	v_addc_co_u32_e32 v3, vcc, 0, v3, vcc
	v_mul_lo_u32 v4, s11, v2
	v_mul_lo_u32 v5, s10, v3
	v_mad_u64_u32 v[2:3], s[0:1], s10, v2, 0
	v_add3_u32 v3, v3, v5, v4
	v_sub_u32_e32 v4, v1, v3
	v_mov_b32_e32 v5, s11
	v_sub_co_u32_e32 v0, vcc, v0, v2
	v_subb_co_u32_e64 v2, s[0:1], v4, v5, vcc
	v_subrev_co_u32_e64 v4, s[0:1], s10, v0
	v_subbrev_co_u32_e64 v6, s[2:3], 0, v2, s[0:1]
	v_cmp_le_u32_e64 s[2:3], s11, v6
	v_cndmask_b32_e64 v7, 0, -1, s[2:3]
	v_cmp_le_u32_e64 s[2:3], s10, v4
	v_subb_co_u32_e64 v2, s[0:1], v2, v5, s[0:1]
	v_cndmask_b32_e64 v8, 0, -1, s[2:3]
	v_cmp_eq_u32_e64 s[2:3], s11, v6
	v_subrev_co_u32_e64 v5, s[0:1], s10, v4
	v_subb_co_u32_e32 v1, vcc, v1, v3, vcc
	v_cndmask_b32_e64 v7, v7, v8, s[2:3]
	v_subbrev_co_u32_e64 v2, s[0:1], 0, v2, s[0:1]
	v_cmp_le_u32_e32 vcc, s11, v1
	v_cmp_ne_u32_e64 s[0:1], 0, v7
	v_cndmask_b32_e64 v3, 0, -1, vcc
	v_cmp_le_u32_e32 vcc, s10, v0
	v_cndmask_b32_e64 v2, v6, v2, s[0:1]
	v_cndmask_b32_e64 v6, 0, -1, vcc
	v_cmp_eq_u32_e32 vcc, s11, v1
	v_cndmask_b32_e32 v3, v3, v6, vcc
	v_cmp_ne_u32_e32 vcc, 0, v3
	v_cndmask_b32_e32 v3, v1, v2, vcc
	v_cndmask_b32_e64 v1, v4, v5, s[0:1]
	v_cndmask_b32_e32 v2, v0, v1, vcc
                                        ; implicit-def: $vgpr0_vgpr1
.LBB28_3:
	s_andn2_saveexec_b64 s[0:1], s[12:13]
	s_cbranch_execz .LBB28_5
; %bb.4:
	v_cvt_f32_u32_e32 v1, s10
	s_sub_i32 s2, 0, s10
	v_mov_b32_e32 v3, 0
	v_rcp_iflag_f32_e32 v1, v1
	v_mul_f32_e32 v1, 0x4f7ffffe, v1
	v_cvt_u32_f32_e32 v1, v1
	v_mul_lo_u32 v2, s2, v1
	v_mul_hi_u32 v2, v1, v2
	v_add_u32_e32 v1, v1, v2
	v_mul_hi_u32 v1, v0, v1
	v_mul_lo_u32 v1, v1, s10
	v_sub_u32_e32 v0, v0, v1
	v_subrev_u32_e32 v1, s10, v0
	v_cmp_le_u32_e32 vcc, s10, v0
	v_cndmask_b32_e32 v0, v0, v1, vcc
	v_subrev_u32_e32 v1, s10, v0
	v_cmp_le_u32_e32 vcc, s10, v0
	v_cndmask_b32_e32 v2, v0, v1, vcc
.LBB28_5:
	s_or_b64 exec, exec, s[0:1]
	s_load_dwordx4 s[0:3], s[4:5], 0x70
	s_load_dwordx8 s[12:19], s[4:5], 0x18
	s_load_dwordx2 s[10:11], s[4:5], 0x68
	s_waitcnt lgkmcnt(0)
	s_add_i32 s20, s1, s7
	s_sub_i32 s1, 0, s0
	s_add_i32 s13, s2, s8
	s_max_i32 s21, s1, 0
	s_max_i32 s22, s0, 0
	v_max_i32_e32 v0, s0, v2
	s_add_i32 s12, s0, s12
	s_load_dwordx2 s[8:9], s[4:5], 0x38
	s_load_dwordx4 s[0:3], s[4:5], 0x58
	s_add_i32 s12, s12, -1
	s_load_dwordx2 s[6:7], s[4:5], 0x0
	v_min_i32_e32 v0, s12, v0
	s_sub_i32 s4, s21, s22
	v_add_u32_e32 v4, s4, v0
	s_waitcnt lgkmcnt(0)
	s_mul_i32 s1, s1, s13
	s_mul_hi_u32 s4, s0, s13
	s_add_i32 s1, s4, s1
	s_mul_i32 s0, s0, s13
	s_lshl_b64 s[0:1], s[0:1], 1
	s_add_u32 s4, s8, s0
	s_addc_u32 s5, s9, s1
	s_mul_i32 s0, s3, s20
	s_mul_hi_u32 s1, s2, s20
	s_add_i32 s1, s1, s0
	s_mul_i32 s0, s2, s20
	v_mul_lo_u32 v5, s11, v2
	v_mul_lo_u32 v3, s10, v3
	v_mad_u64_u32 v[0:1], s[2:3], s10, v2, 0
	s_lshl_b64 s[0:1], s[0:1], 1
	s_add_u32 s0, s4, s0
	v_add3_u32 v1, v1, v3, v5
	v_lshlrev_b64 v[0:1], 1, v[0:1]
	s_addc_u32 s1, s5, s1
	v_mov_b32_e32 v2, s1
	v_add_co_u32_e32 v0, vcc, s0, v0
	s_mul_i32 s0, s15, s13
	s_mul_hi_u32 s1, s14, s13
	v_addc_co_u32_e32 v1, vcc, v2, v1, vcc
	s_add_i32 s1, s1, s0
	s_mul_i32 s0, s14, s13
	v_ashrrev_i32_e32 v2, 31, v4
	s_lshl_b64 s[0:1], s[0:1], 1
	v_mul_lo_u32 v5, s18, v2
	v_mul_lo_u32 v6, s19, v4
	v_mad_u64_u32 v[2:3], s[2:3], s18, v4, 0
	s_add_u32 s4, s6, s0
	s_addc_u32 s5, s7, s1
	s_mul_i32 s0, s17, s20
	s_mul_hi_u32 s1, s16, s20
	s_add_i32 s1, s1, s0
	s_mul_i32 s0, s16, s20
	s_lshl_b64 s[0:1], s[0:1], 1
	v_add3_u32 v3, v3, v5, v6
	s_add_u32 s0, s4, s0
	v_lshlrev_b64 v[2:3], 1, v[2:3]
	s_addc_u32 s1, s5, s1
	v_mov_b32_e32 v4, s1
	v_add_co_u32_e32 v2, vcc, s0, v2
	v_addc_co_u32_e32 v3, vcc, v4, v3, vcc
	v_and_b32_e32 v4, 2, v2
	v_sub_co_u32_e32 v5, vcc, 0, v4
	v_subb_co_u32_e64 v6, s[0:1], 0, 0, vcc
	global_load_ushort v7, v[0:1], off
	v_add_co_u32_e32 v0, vcc, v2, v5
	v_addc_co_u32_e32 v1, vcc, v3, v6, vcc
	global_load_dword v3, v[0:1], off
	v_mov_b32_e32 v5, 0
	v_cmp_eq_u64_e64 s[0:1], 0, v[4:5]
	s_mov_b64 s[2:3], 0
	s_movk_i32 s4, 0x7fff
	v_mov_b32_e32 v5, 0x7fc0
	s_mov_b32 s5, 0xffff0000
	s_waitcnt vmcnt(1)
	v_lshlrev_b32_e32 v4, 16, v7
.LBB28_6:                               ; =>This Inner Loop Header: Depth=1
	s_mov_b64 vcc, s[0:1]
	s_waitcnt vmcnt(0)
	v_and_b32_e32 v2, 0xffff, v3
	v_cndmask_b32_sdwa v6, v3, v2, vcc dst_sel:WORD_1 dst_unused:UNUSED_PAD src0_sel:WORD_1 src1_sel:DWORD
	v_add_f32_e32 v6, v4, v6
	v_bfe_u32 v7, v6, 16, 1
	v_cmp_o_f32_e32 vcc, v6, v6
	v_add3_u32 v6, v6, v7, s4
	v_cndmask_b32_sdwa v6, v5, v6, vcc dst_sel:DWORD dst_unused:UNUSED_PAD src0_sel:DWORD src1_sel:WORD_1
	v_lshl_or_b32 v2, v6, 16, v2
	v_and_or_b32 v6, v3, s5, v6
	v_cndmask_b32_e64 v2, v2, v6, s[0:1]
	global_atomic_cmpswap v2, v[0:1], v[2:3], off glc
	s_waitcnt vmcnt(0)
	v_cmp_eq_u32_e32 vcc, v3, v2
	s_or_b64 s[2:3], vcc, s[2:3]
	v_mov_b32_e32 v3, v2
	s_andn2_b64 exec, exec, s[2:3]
	s_cbranch_execnz .LBB28_6
.LBB28_7:
	s_endpgm
	.section	.rodata,"a",@progbits
	.p2align	6, 0x0
	.amdhsa_kernel _ZN2at6native12_GLOBAL__N_131replication_pad_backward_kernelIN3c108BFloat16EEEvN5torch10headeronly6detail27GenericPackedTensorAccessorINS7_14TensorAccessorINS3_8ArrayRefIlEET_Lm2ENS6_16DefaultPtrTraitsElEENS_6detail16IndexBoundsCheckILm3ElEESC_Lm3ESD_lEENS8_INS9_ISB_KSC_Lm2ESD_lEESH_SJ_Lm3ESD_lEEiii
		.amdhsa_group_segment_fixed_size 0
		.amdhsa_private_segment_fixed_size 0
		.amdhsa_kernarg_size 384
		.amdhsa_user_sgpr_count 6
		.amdhsa_user_sgpr_private_segment_buffer 1
		.amdhsa_user_sgpr_dispatch_ptr 0
		.amdhsa_user_sgpr_queue_ptr 0
		.amdhsa_user_sgpr_kernarg_segment_ptr 1
		.amdhsa_user_sgpr_dispatch_id 0
		.amdhsa_user_sgpr_flat_scratch_init 0
		.amdhsa_user_sgpr_private_segment_size 0
		.amdhsa_uses_dynamic_stack 0
		.amdhsa_system_sgpr_private_segment_wavefront_offset 0
		.amdhsa_system_sgpr_workgroup_id_x 1
		.amdhsa_system_sgpr_workgroup_id_y 1
		.amdhsa_system_sgpr_workgroup_id_z 1
		.amdhsa_system_sgpr_workgroup_info 0
		.amdhsa_system_vgpr_workitem_id 0
		.amdhsa_next_free_vgpr 9
		.amdhsa_next_free_sgpr 23
		.amdhsa_reserve_vcc 1
		.amdhsa_reserve_flat_scratch 0
		.amdhsa_float_round_mode_32 0
		.amdhsa_float_round_mode_16_64 0
		.amdhsa_float_denorm_mode_32 3
		.amdhsa_float_denorm_mode_16_64 3
		.amdhsa_dx10_clamp 1
		.amdhsa_ieee_mode 1
		.amdhsa_fp16_overflow 0
		.amdhsa_exception_fp_ieee_invalid_op 0
		.amdhsa_exception_fp_denorm_src 0
		.amdhsa_exception_fp_ieee_div_zero 0
		.amdhsa_exception_fp_ieee_overflow 0
		.amdhsa_exception_fp_ieee_underflow 0
		.amdhsa_exception_fp_ieee_inexact 0
		.amdhsa_exception_int_div_zero 0
	.end_amdhsa_kernel
	.section	.text._ZN2at6native12_GLOBAL__N_131replication_pad_backward_kernelIN3c108BFloat16EEEvN5torch10headeronly6detail27GenericPackedTensorAccessorINS7_14TensorAccessorINS3_8ArrayRefIlEET_Lm2ENS6_16DefaultPtrTraitsElEENS_6detail16IndexBoundsCheckILm3ElEESC_Lm3ESD_lEENS8_INS9_ISB_KSC_Lm2ESD_lEESH_SJ_Lm3ESD_lEEiii,"axG",@progbits,_ZN2at6native12_GLOBAL__N_131replication_pad_backward_kernelIN3c108BFloat16EEEvN5torch10headeronly6detail27GenericPackedTensorAccessorINS7_14TensorAccessorINS3_8ArrayRefIlEET_Lm2ENS6_16DefaultPtrTraitsElEENS_6detail16IndexBoundsCheckILm3ElEESC_Lm3ESD_lEENS8_INS9_ISB_KSC_Lm2ESD_lEESH_SJ_Lm3ESD_lEEiii,comdat
.Lfunc_end28:
	.size	_ZN2at6native12_GLOBAL__N_131replication_pad_backward_kernelIN3c108BFloat16EEEvN5torch10headeronly6detail27GenericPackedTensorAccessorINS7_14TensorAccessorINS3_8ArrayRefIlEET_Lm2ENS6_16DefaultPtrTraitsElEENS_6detail16IndexBoundsCheckILm3ElEESC_Lm3ESD_lEENS8_INS9_ISB_KSC_Lm2ESD_lEESH_SJ_Lm3ESD_lEEiii, .Lfunc_end28-_ZN2at6native12_GLOBAL__N_131replication_pad_backward_kernelIN3c108BFloat16EEEvN5torch10headeronly6detail27GenericPackedTensorAccessorINS7_14TensorAccessorINS3_8ArrayRefIlEET_Lm2ENS6_16DefaultPtrTraitsElEENS_6detail16IndexBoundsCheckILm3ElEESC_Lm3ESD_lEENS8_INS9_ISB_KSC_Lm2ESD_lEESH_SJ_Lm3ESD_lEEiii
                                        ; -- End function
	.set _ZN2at6native12_GLOBAL__N_131replication_pad_backward_kernelIN3c108BFloat16EEEvN5torch10headeronly6detail27GenericPackedTensorAccessorINS7_14TensorAccessorINS3_8ArrayRefIlEET_Lm2ENS6_16DefaultPtrTraitsElEENS_6detail16IndexBoundsCheckILm3ElEESC_Lm3ESD_lEENS8_INS9_ISB_KSC_Lm2ESD_lEESH_SJ_Lm3ESD_lEEiii.num_vgpr, 9
	.set _ZN2at6native12_GLOBAL__N_131replication_pad_backward_kernelIN3c108BFloat16EEEvN5torch10headeronly6detail27GenericPackedTensorAccessorINS7_14TensorAccessorINS3_8ArrayRefIlEET_Lm2ENS6_16DefaultPtrTraitsElEENS_6detail16IndexBoundsCheckILm3ElEESC_Lm3ESD_lEENS8_INS9_ISB_KSC_Lm2ESD_lEESH_SJ_Lm3ESD_lEEiii.num_agpr, 0
	.set _ZN2at6native12_GLOBAL__N_131replication_pad_backward_kernelIN3c108BFloat16EEEvN5torch10headeronly6detail27GenericPackedTensorAccessorINS7_14TensorAccessorINS3_8ArrayRefIlEET_Lm2ENS6_16DefaultPtrTraitsElEENS_6detail16IndexBoundsCheckILm3ElEESC_Lm3ESD_lEENS8_INS9_ISB_KSC_Lm2ESD_lEESH_SJ_Lm3ESD_lEEiii.numbered_sgpr, 23
	.set _ZN2at6native12_GLOBAL__N_131replication_pad_backward_kernelIN3c108BFloat16EEEvN5torch10headeronly6detail27GenericPackedTensorAccessorINS7_14TensorAccessorINS3_8ArrayRefIlEET_Lm2ENS6_16DefaultPtrTraitsElEENS_6detail16IndexBoundsCheckILm3ElEESC_Lm3ESD_lEENS8_INS9_ISB_KSC_Lm2ESD_lEESH_SJ_Lm3ESD_lEEiii.num_named_barrier, 0
	.set _ZN2at6native12_GLOBAL__N_131replication_pad_backward_kernelIN3c108BFloat16EEEvN5torch10headeronly6detail27GenericPackedTensorAccessorINS7_14TensorAccessorINS3_8ArrayRefIlEET_Lm2ENS6_16DefaultPtrTraitsElEENS_6detail16IndexBoundsCheckILm3ElEESC_Lm3ESD_lEENS8_INS9_ISB_KSC_Lm2ESD_lEESH_SJ_Lm3ESD_lEEiii.private_seg_size, 0
	.set _ZN2at6native12_GLOBAL__N_131replication_pad_backward_kernelIN3c108BFloat16EEEvN5torch10headeronly6detail27GenericPackedTensorAccessorINS7_14TensorAccessorINS3_8ArrayRefIlEET_Lm2ENS6_16DefaultPtrTraitsElEENS_6detail16IndexBoundsCheckILm3ElEESC_Lm3ESD_lEENS8_INS9_ISB_KSC_Lm2ESD_lEESH_SJ_Lm3ESD_lEEiii.uses_vcc, 1
	.set _ZN2at6native12_GLOBAL__N_131replication_pad_backward_kernelIN3c108BFloat16EEEvN5torch10headeronly6detail27GenericPackedTensorAccessorINS7_14TensorAccessorINS3_8ArrayRefIlEET_Lm2ENS6_16DefaultPtrTraitsElEENS_6detail16IndexBoundsCheckILm3ElEESC_Lm3ESD_lEENS8_INS9_ISB_KSC_Lm2ESD_lEESH_SJ_Lm3ESD_lEEiii.uses_flat_scratch, 0
	.set _ZN2at6native12_GLOBAL__N_131replication_pad_backward_kernelIN3c108BFloat16EEEvN5torch10headeronly6detail27GenericPackedTensorAccessorINS7_14TensorAccessorINS3_8ArrayRefIlEET_Lm2ENS6_16DefaultPtrTraitsElEENS_6detail16IndexBoundsCheckILm3ElEESC_Lm3ESD_lEENS8_INS9_ISB_KSC_Lm2ESD_lEESH_SJ_Lm3ESD_lEEiii.has_dyn_sized_stack, 0
	.set _ZN2at6native12_GLOBAL__N_131replication_pad_backward_kernelIN3c108BFloat16EEEvN5torch10headeronly6detail27GenericPackedTensorAccessorINS7_14TensorAccessorINS3_8ArrayRefIlEET_Lm2ENS6_16DefaultPtrTraitsElEENS_6detail16IndexBoundsCheckILm3ElEESC_Lm3ESD_lEENS8_INS9_ISB_KSC_Lm2ESD_lEESH_SJ_Lm3ESD_lEEiii.has_recursion, 0
	.set _ZN2at6native12_GLOBAL__N_131replication_pad_backward_kernelIN3c108BFloat16EEEvN5torch10headeronly6detail27GenericPackedTensorAccessorINS7_14TensorAccessorINS3_8ArrayRefIlEET_Lm2ENS6_16DefaultPtrTraitsElEENS_6detail16IndexBoundsCheckILm3ElEESC_Lm3ESD_lEENS8_INS9_ISB_KSC_Lm2ESD_lEESH_SJ_Lm3ESD_lEEiii.has_indirect_call, 0
	.section	.AMDGPU.csdata,"",@progbits
; Kernel info:
; codeLenInByte = 1248
; TotalNumSgprs: 27
; NumVgprs: 9
; ScratchSize: 0
; MemoryBound: 0
; FloatMode: 240
; IeeeMode: 1
; LDSByteSize: 0 bytes/workgroup (compile time only)
; SGPRBlocks: 3
; VGPRBlocks: 2
; NumSGPRsForWavesPerEU: 27
; NumVGPRsForWavesPerEU: 9
; Occupancy: 10
; WaveLimiterHint : 1
; COMPUTE_PGM_RSRC2:SCRATCH_EN: 0
; COMPUTE_PGM_RSRC2:USER_SGPR: 6
; COMPUTE_PGM_RSRC2:TRAP_HANDLER: 0
; COMPUTE_PGM_RSRC2:TGID_X_EN: 1
; COMPUTE_PGM_RSRC2:TGID_Y_EN: 1
; COMPUTE_PGM_RSRC2:TGID_Z_EN: 1
; COMPUTE_PGM_RSRC2:TIDIG_COMP_CNT: 0
	.section	.text._ZN2at6native12_GLOBAL__N_132replication_pad_forward_kernel2dIhEEvN5torch10headeronly6detail27GenericPackedTensorAccessorINS5_14TensorAccessorIN3c108ArrayRefIlEEKT_Lm3ENS4_16DefaultPtrTraitsElEENS_6detail16IndexBoundsCheckILm4ElEESC_Lm4ESD_lEENS6_INS7_ISA_SB_Lm3ESD_lEESH_SB_Lm4ESD_lEEiiii,"axG",@progbits,_ZN2at6native12_GLOBAL__N_132replication_pad_forward_kernel2dIhEEvN5torch10headeronly6detail27GenericPackedTensorAccessorINS5_14TensorAccessorIN3c108ArrayRefIlEEKT_Lm3ENS4_16DefaultPtrTraitsElEENS_6detail16IndexBoundsCheckILm4ElEESC_Lm4ESD_lEENS6_INS7_ISA_SB_Lm3ESD_lEESH_SB_Lm4ESD_lEEiiii,comdat
	.globl	_ZN2at6native12_GLOBAL__N_132replication_pad_forward_kernel2dIhEEvN5torch10headeronly6detail27GenericPackedTensorAccessorINS5_14TensorAccessorIN3c108ArrayRefIlEEKT_Lm3ENS4_16DefaultPtrTraitsElEENS_6detail16IndexBoundsCheckILm4ElEESC_Lm4ESD_lEENS6_INS7_ISA_SB_Lm3ESD_lEESH_SB_Lm4ESD_lEEiiii ; -- Begin function _ZN2at6native12_GLOBAL__N_132replication_pad_forward_kernel2dIhEEvN5torch10headeronly6detail27GenericPackedTensorAccessorINS5_14TensorAccessorIN3c108ArrayRefIlEEKT_Lm3ENS4_16DefaultPtrTraitsElEENS_6detail16IndexBoundsCheckILm4ElEESC_Lm4ESD_lEENS6_INS7_ISA_SB_Lm3ESD_lEESH_SB_Lm4ESD_lEEiiii
	.p2align	8
	.type	_ZN2at6native12_GLOBAL__N_132replication_pad_forward_kernel2dIhEEvN5torch10headeronly6detail27GenericPackedTensorAccessorINS5_14TensorAccessorIN3c108ArrayRefIlEEKT_Lm3ENS4_16DefaultPtrTraitsElEENS_6detail16IndexBoundsCheckILm4ElEESC_Lm4ESD_lEENS6_INS7_ISA_SB_Lm3ESD_lEESH_SB_Lm4ESD_lEEiiii,@function
_ZN2at6native12_GLOBAL__N_132replication_pad_forward_kernel2dIhEEvN5torch10headeronly6detail27GenericPackedTensorAccessorINS5_14TensorAccessorIN3c108ArrayRefIlEEKT_Lm3ENS4_16DefaultPtrTraitsElEENS_6detail16IndexBoundsCheckILm4ElEESC_Lm4ESD_lEENS6_INS7_ISA_SB_Lm3ESD_lEESH_SB_Lm4ESD_lEEiiii: ; @_ZN2at6native12_GLOBAL__N_132replication_pad_forward_kernel2dIhEEvN5torch10headeronly6detail27GenericPackedTensorAccessorINS5_14TensorAccessorIN3c108ArrayRefIlEEKT_Lm3ENS4_16DefaultPtrTraitsElEENS_6detail16IndexBoundsCheckILm4ElEESC_Lm4ESD_lEENS6_INS7_ISA_SB_Lm3ESD_lEESH_SB_Lm4ESD_lEEiiii
; %bb.0:
	s_load_dword s9, s[4:5], 0xac
	s_load_dwordx4 s[0:3], s[4:5], 0x60
	s_waitcnt lgkmcnt(0)
	s_and_b32 s9, s9, 0xffff
	s_mul_i32 s6, s6, s9
	v_add_u32_e32 v0, s6, v0
	s_mul_i32 s1, s2, s1
	s_mul_hi_u32 s6, s2, s0
	s_add_i32 s1, s6, s1
	s_mul_i32 s6, s3, s0
	v_ashrrev_i32_e32 v1, 31, v0
	s_add_i32 s1, s1, s6
	s_mul_i32 s0, s2, s0
	v_cmp_gt_i64_e32 vcc, s[0:1], v[0:1]
	s_and_saveexec_b64 s[0:1], vcc
	s_cbranch_execz .LBB29_6
; %bb.1:
	v_or_b32_e32 v3, s3, v1
	v_mov_b32_e32 v2, 0
	v_cmp_ne_u64_e32 vcc, 0, v[2:3]
                                        ; implicit-def: $vgpr2_vgpr3
	s_and_saveexec_b64 s[0:1], vcc
	s_xor_b64 s[10:11], exec, s[0:1]
	s_cbranch_execz .LBB29_3
; %bb.2:
	s_ashr_i32 s12, s3, 31
	s_add_u32 s0, s2, s12
	s_mov_b32 s13, s12
	s_addc_u32 s1, s3, s12
	s_xor_b64 s[14:15], s[0:1], s[12:13]
	v_cvt_f32_u32_e32 v2, s14
	v_cvt_f32_u32_e32 v3, s15
	s_sub_u32 s6, 0, s14
	s_subb_u32 s9, 0, s15
	v_ashrrev_i32_e32 v6, 31, v1
	v_madmk_f32 v2, v3, 0x4f800000, v2
	v_rcp_f32_e32 v2, v2
	v_mul_f32_e32 v2, 0x5f7ffffc, v2
	v_mul_f32_e32 v3, 0x2f800000, v2
	v_trunc_f32_e32 v3, v3
	v_madmk_f32 v2, v3, 0xcf800000, v2
	v_cvt_u32_f32_e32 v3, v3
	v_cvt_u32_f32_e32 v2, v2
	v_readfirstlane_b32 s13, v3
	v_readfirstlane_b32 s0, v2
	s_mul_i32 s1, s6, s13
	s_mul_hi_u32 s17, s6, s0
	s_mul_i32 s16, s9, s0
	s_add_i32 s1, s17, s1
	s_add_i32 s1, s1, s16
	s_mul_i32 s18, s6, s0
	s_mul_i32 s17, s0, s1
	s_mul_hi_u32 s19, s0, s18
	s_mul_hi_u32 s16, s0, s1
	s_add_u32 s17, s19, s17
	s_addc_u32 s16, 0, s16
	s_mul_hi_u32 s20, s13, s18
	s_mul_i32 s18, s13, s18
	s_add_u32 s17, s17, s18
	s_mul_hi_u32 s19, s13, s1
	s_addc_u32 s16, s16, s20
	s_addc_u32 s17, s19, 0
	s_mul_i32 s1, s13, s1
	s_add_u32 s1, s16, s1
	s_addc_u32 s16, 0, s17
	s_add_u32 s17, s0, s1
	s_cselect_b64 s[0:1], -1, 0
	s_cmp_lg_u64 s[0:1], 0
	s_addc_u32 s13, s13, s16
	s_mul_i32 s0, s6, s13
	s_mul_hi_u32 s1, s6, s17
	s_add_i32 s0, s1, s0
	s_mul_i32 s9, s9, s17
	s_add_i32 s0, s0, s9
	s_mul_i32 s6, s6, s17
	s_mul_hi_u32 s9, s13, s6
	s_mul_i32 s16, s13, s6
	s_mul_i32 s19, s17, s0
	s_mul_hi_u32 s6, s17, s6
	s_mul_hi_u32 s18, s17, s0
	s_add_u32 s6, s6, s19
	s_addc_u32 s18, 0, s18
	s_add_u32 s6, s6, s16
	s_mul_hi_u32 s1, s13, s0
	s_addc_u32 s6, s18, s9
	s_addc_u32 s1, s1, 0
	s_mul_i32 s0, s13, s0
	s_add_u32 s0, s6, s0
	s_addc_u32 s6, 0, s1
	s_add_u32 s9, s17, s0
	s_cselect_b64 s[0:1], -1, 0
	s_cmp_lg_u64 s[0:1], 0
	v_add_co_u32_e32 v2, vcc, v0, v6
	s_addc_u32 s6, s13, s6
	v_xor_b32_e32 v7, v2, v6
	v_mad_u64_u32 v[2:3], s[0:1], v7, s6, 0
	v_mul_hi_u32 v5, v7, s9
	v_addc_co_u32_e32 v4, vcc, v1, v6, vcc
	v_xor_b32_e32 v8, v4, v6
	v_add_co_u32_e32 v9, vcc, v5, v2
	v_addc_co_u32_e32 v10, vcc, 0, v3, vcc
	v_mad_u64_u32 v[2:3], s[0:1], v8, s9, 0
	v_mad_u64_u32 v[4:5], s[0:1], v8, s6, 0
	v_add_co_u32_e32 v2, vcc, v9, v2
	v_addc_co_u32_e32 v2, vcc, v10, v3, vcc
	v_addc_co_u32_e32 v3, vcc, 0, v5, vcc
	v_add_co_u32_e32 v4, vcc, v2, v4
	v_addc_co_u32_e32 v5, vcc, 0, v3, vcc
	v_mul_lo_u32 v9, s15, v4
	v_mul_lo_u32 v10, s14, v5
	v_mad_u64_u32 v[2:3], s[0:1], s14, v4, 0
	v_add3_u32 v3, v3, v10, v9
	v_sub_u32_e32 v9, v8, v3
	v_mov_b32_e32 v10, s15
	v_sub_co_u32_e32 v2, vcc, v7, v2
	v_subb_co_u32_e64 v7, s[0:1], v9, v10, vcc
	v_subrev_co_u32_e64 v9, s[0:1], s14, v2
	v_subbrev_co_u32_e64 v7, s[0:1], 0, v7, s[0:1]
	v_cmp_le_u32_e64 s[0:1], s15, v7
	v_cndmask_b32_e64 v10, 0, -1, s[0:1]
	v_cmp_le_u32_e64 s[0:1], s14, v9
	v_cndmask_b32_e64 v9, 0, -1, s[0:1]
	v_cmp_eq_u32_e64 s[0:1], s15, v7
	v_cndmask_b32_e64 v7, v10, v9, s[0:1]
	v_add_co_u32_e64 v9, s[0:1], 2, v4
	v_subb_co_u32_e32 v3, vcc, v8, v3, vcc
	v_addc_co_u32_e64 v10, s[0:1], 0, v5, s[0:1]
	v_cmp_le_u32_e32 vcc, s15, v3
	v_add_co_u32_e64 v11, s[0:1], 1, v4
	v_cndmask_b32_e64 v8, 0, -1, vcc
	v_cmp_le_u32_e32 vcc, s14, v2
	v_addc_co_u32_e64 v12, s[0:1], 0, v5, s[0:1]
	v_cndmask_b32_e64 v2, 0, -1, vcc
	v_cmp_eq_u32_e32 vcc, s15, v3
	v_cmp_ne_u32_e64 s[0:1], 0, v7
	v_cndmask_b32_e32 v2, v8, v2, vcc
	v_cndmask_b32_e64 v7, v12, v10, s[0:1]
	v_cmp_ne_u32_e32 vcc, 0, v2
	v_cndmask_b32_e64 v3, v11, v9, s[0:1]
	v_cndmask_b32_e32 v2, v5, v7, vcc
	v_cndmask_b32_e32 v3, v4, v3, vcc
	v_xor_b32_e32 v4, s12, v6
	v_xor_b32_e32 v5, v2, v4
	;; [unrolled: 1-line block ×3, first 2 shown]
	v_sub_co_u32_e32 v2, vcc, v2, v4
	v_subb_co_u32_e32 v3, vcc, v5, v4, vcc
.LBB29_3:
	s_andn2_saveexec_b64 s[0:1], s[10:11]
	s_cbranch_execz .LBB29_5
; %bb.4:
	v_cvt_f32_u32_e32 v2, s2
	s_sub_i32 s6, 0, s2
	v_rcp_iflag_f32_e32 v2, v2
	v_mul_f32_e32 v2, 0x4f7ffffe, v2
	v_cvt_u32_f32_e32 v2, v2
	v_mul_lo_u32 v3, s6, v2
	v_mul_hi_u32 v3, v2, v3
	v_add_u32_e32 v2, v2, v3
	v_mul_hi_u32 v2, v0, v2
	v_mul_lo_u32 v3, v2, s2
	v_add_u32_e32 v4, 1, v2
	v_sub_u32_e32 v3, v0, v3
	v_subrev_u32_e32 v5, s2, v3
	v_cmp_le_u32_e32 vcc, s2, v3
	v_cndmask_b32_e32 v3, v3, v5, vcc
	v_cndmask_b32_e32 v2, v2, v4, vcc
	v_add_u32_e32 v4, 1, v2
	v_cmp_le_u32_e32 vcc, s2, v3
	v_cndmask_b32_e32 v2, v2, v4, vcc
	v_mov_b32_e32 v3, 0
.LBB29_5:
	s_or_b64 exec, exec, s[0:1]
	s_load_dwordx4 s[12:15], s[4:5], 0x90
	s_load_dwordx8 s[16:23], s[4:5], 0x18
	v_mul_lo_u32 v5, v3, s2
	v_mad_u64_u32 v[3:4], s[0:1], v2, s2, 0
	s_waitcnt lgkmcnt(0)
	s_sub_i32 s0, 0, s13
	v_mul_lo_u32 v6, v2, s3
	s_add_i32 s24, s15, s8
	s_max_i32 s8, s0, 0
	s_max_i32 s10, s13, 0
	s_sub_i32 s0, 0, s12
	s_sub_i32 s8, s8, s10
	s_add_i32 s10, s12, s16
	v_sub_co_u32_e32 v3, vcc, v0, v3
	s_max_i32 s9, s0, 0
	s_max_i32 s11, s12, 0
	v_max_i32_e32 v0, s12, v2
	s_add_i32 s10, s10, -1
	s_add_i32 s25, s14, s7
	s_load_dwordx2 s[6:7], s[4:5], 0x0
	s_load_dwordx4 s[0:3], s[4:5], 0x38
	v_min_i32_e32 v0, s10, v0
	s_sub_i32 s9, s9, s11
	s_ashr_i32 s16, s24, 31
	v_add3_u32 v4, v4, v6, v5
	v_add_u32_e32 v5, s9, v0
	s_mul_i32 s9, s20, s16
	s_mul_hi_u32 s10, s20, s24
	s_add_i32 s14, s13, s18
	s_add_i32 s9, s10, s9
	s_mul_i32 s10, s21, s24
	s_add_i32 s14, s14, -1
	s_add_i32 s9, s9, s10
	s_mul_i32 s10, s20, s24
	s_waitcnt lgkmcnt(0)
	s_add_u32 s6, s6, s10
	s_addc_u32 s7, s7, s9
	s_ashr_i32 s17, s25, 31
	s_mul_i32 s9, s22, s17
	s_mul_hi_u32 s10, s22, s25
	s_add_i32 s9, s10, s9
	s_mul_i32 s10, s23, s25
	s_add_i32 s9, s9, s10
	s_mul_i32 s10, s22, s25
	s_add_u32 s6, s6, s10
	v_ashrrev_i32_e32 v0, 31, v5
	v_subb_co_u32_e32 v4, vcc, v1, v4, vcc
	s_addc_u32 s7, s7, s9
	v_mul_lo_u32 v6, s0, v0
	v_mov_b32_e32 v0, s6
	v_mov_b32_e32 v1, s7
	v_mad_u64_u32 v[0:1], s[6:7], s0, v5, v[0:1]
	v_mul_lo_u32 v5, s1, v5
	v_max_i32_e32 v7, s13, v3
	v_min_i32_e32 v7, s14, v7
	v_add_u32_e32 v7, s8, v7
	v_add3_u32 v1, v5, v1, v6
	v_ashrrev_i32_e32 v5, 31, v7
	v_mad_u64_u32 v[0:1], s[0:1], s2, v7, v[0:1]
	v_mul_lo_u32 v5, s2, v5
	v_mul_lo_u32 v6, s3, v7
	v_add3_u32 v1, v6, v1, v5
	global_load_ubyte v5, v[0:1], off
	s_load_dwordx8 s[8:15], s[4:5], 0x70
	s_load_dwordx2 s[0:1], s[4:5], 0x48
	v_ashrrev_i32_e32 v6, 31, v2
	s_waitcnt lgkmcnt(0)
	s_mul_i32 s2, s8, s16
	s_mul_hi_u32 s3, s8, s24
	s_add_i32 s2, s3, s2
	s_mul_i32 s3, s9, s24
	s_add_i32 s2, s2, s3
	s_mul_i32 s3, s8, s24
	s_add_u32 s0, s0, s3
	s_addc_u32 s1, s1, s2
	s_mul_i32 s2, s10, s17
	s_mul_hi_u32 s3, s10, s25
	s_add_i32 s2, s3, s2
	s_mul_i32 s3, s11, s25
	s_add_i32 s2, s2, s3
	s_mul_i32 s3, s10, s25
	s_add_u32 s0, s0, s3
	s_addc_u32 s1, s1, s2
	v_mov_b32_e32 v0, s0
	v_mov_b32_e32 v1, s1
	v_mad_u64_u32 v[0:1], s[0:1], s12, v2, v[0:1]
	v_mul_lo_u32 v2, s13, v2
	v_mul_lo_u32 v6, s12, v6
	v_add3_u32 v1, v2, v1, v6
	v_mad_u64_u32 v[0:1], s[0:1], s14, v3, v[0:1]
	v_mul_lo_u32 v2, s14, v4
	v_mul_lo_u32 v3, s15, v3
	v_add3_u32 v1, v3, v1, v2
	s_waitcnt vmcnt(0)
	global_store_byte v[0:1], v5, off
.LBB29_6:
	s_endpgm
	.section	.rodata,"a",@progbits
	.p2align	6, 0x0
	.amdhsa_kernel _ZN2at6native12_GLOBAL__N_132replication_pad_forward_kernel2dIhEEvN5torch10headeronly6detail27GenericPackedTensorAccessorINS5_14TensorAccessorIN3c108ArrayRefIlEEKT_Lm3ENS4_16DefaultPtrTraitsElEENS_6detail16IndexBoundsCheckILm4ElEESC_Lm4ESD_lEENS6_INS7_ISA_SB_Lm3ESD_lEESH_SB_Lm4ESD_lEEiiii
		.amdhsa_group_segment_fixed_size 0
		.amdhsa_private_segment_fixed_size 0
		.amdhsa_kernarg_size 416
		.amdhsa_user_sgpr_count 6
		.amdhsa_user_sgpr_private_segment_buffer 1
		.amdhsa_user_sgpr_dispatch_ptr 0
		.amdhsa_user_sgpr_queue_ptr 0
		.amdhsa_user_sgpr_kernarg_segment_ptr 1
		.amdhsa_user_sgpr_dispatch_id 0
		.amdhsa_user_sgpr_flat_scratch_init 0
		.amdhsa_user_sgpr_private_segment_size 0
		.amdhsa_uses_dynamic_stack 0
		.amdhsa_system_sgpr_private_segment_wavefront_offset 0
		.amdhsa_system_sgpr_workgroup_id_x 1
		.amdhsa_system_sgpr_workgroup_id_y 1
		.amdhsa_system_sgpr_workgroup_id_z 1
		.amdhsa_system_sgpr_workgroup_info 0
		.amdhsa_system_vgpr_workitem_id 0
		.amdhsa_next_free_vgpr 13
		.amdhsa_next_free_sgpr 26
		.amdhsa_reserve_vcc 1
		.amdhsa_reserve_flat_scratch 0
		.amdhsa_float_round_mode_32 0
		.amdhsa_float_round_mode_16_64 0
		.amdhsa_float_denorm_mode_32 3
		.amdhsa_float_denorm_mode_16_64 3
		.amdhsa_dx10_clamp 1
		.amdhsa_ieee_mode 1
		.amdhsa_fp16_overflow 0
		.amdhsa_exception_fp_ieee_invalid_op 0
		.amdhsa_exception_fp_denorm_src 0
		.amdhsa_exception_fp_ieee_div_zero 0
		.amdhsa_exception_fp_ieee_overflow 0
		.amdhsa_exception_fp_ieee_underflow 0
		.amdhsa_exception_fp_ieee_inexact 0
		.amdhsa_exception_int_div_zero 0
	.end_amdhsa_kernel
	.section	.text._ZN2at6native12_GLOBAL__N_132replication_pad_forward_kernel2dIhEEvN5torch10headeronly6detail27GenericPackedTensorAccessorINS5_14TensorAccessorIN3c108ArrayRefIlEEKT_Lm3ENS4_16DefaultPtrTraitsElEENS_6detail16IndexBoundsCheckILm4ElEESC_Lm4ESD_lEENS6_INS7_ISA_SB_Lm3ESD_lEESH_SB_Lm4ESD_lEEiiii,"axG",@progbits,_ZN2at6native12_GLOBAL__N_132replication_pad_forward_kernel2dIhEEvN5torch10headeronly6detail27GenericPackedTensorAccessorINS5_14TensorAccessorIN3c108ArrayRefIlEEKT_Lm3ENS4_16DefaultPtrTraitsElEENS_6detail16IndexBoundsCheckILm4ElEESC_Lm4ESD_lEENS6_INS7_ISA_SB_Lm3ESD_lEESH_SB_Lm4ESD_lEEiiii,comdat
.Lfunc_end29:
	.size	_ZN2at6native12_GLOBAL__N_132replication_pad_forward_kernel2dIhEEvN5torch10headeronly6detail27GenericPackedTensorAccessorINS5_14TensorAccessorIN3c108ArrayRefIlEEKT_Lm3ENS4_16DefaultPtrTraitsElEENS_6detail16IndexBoundsCheckILm4ElEESC_Lm4ESD_lEENS6_INS7_ISA_SB_Lm3ESD_lEESH_SB_Lm4ESD_lEEiiii, .Lfunc_end29-_ZN2at6native12_GLOBAL__N_132replication_pad_forward_kernel2dIhEEvN5torch10headeronly6detail27GenericPackedTensorAccessorINS5_14TensorAccessorIN3c108ArrayRefIlEEKT_Lm3ENS4_16DefaultPtrTraitsElEENS_6detail16IndexBoundsCheckILm4ElEESC_Lm4ESD_lEENS6_INS7_ISA_SB_Lm3ESD_lEESH_SB_Lm4ESD_lEEiiii
                                        ; -- End function
	.set _ZN2at6native12_GLOBAL__N_132replication_pad_forward_kernel2dIhEEvN5torch10headeronly6detail27GenericPackedTensorAccessorINS5_14TensorAccessorIN3c108ArrayRefIlEEKT_Lm3ENS4_16DefaultPtrTraitsElEENS_6detail16IndexBoundsCheckILm4ElEESC_Lm4ESD_lEENS6_INS7_ISA_SB_Lm3ESD_lEESH_SB_Lm4ESD_lEEiiii.num_vgpr, 13
	.set _ZN2at6native12_GLOBAL__N_132replication_pad_forward_kernel2dIhEEvN5torch10headeronly6detail27GenericPackedTensorAccessorINS5_14TensorAccessorIN3c108ArrayRefIlEEKT_Lm3ENS4_16DefaultPtrTraitsElEENS_6detail16IndexBoundsCheckILm4ElEESC_Lm4ESD_lEENS6_INS7_ISA_SB_Lm3ESD_lEESH_SB_Lm4ESD_lEEiiii.num_agpr, 0
	.set _ZN2at6native12_GLOBAL__N_132replication_pad_forward_kernel2dIhEEvN5torch10headeronly6detail27GenericPackedTensorAccessorINS5_14TensorAccessorIN3c108ArrayRefIlEEKT_Lm3ENS4_16DefaultPtrTraitsElEENS_6detail16IndexBoundsCheckILm4ElEESC_Lm4ESD_lEENS6_INS7_ISA_SB_Lm3ESD_lEESH_SB_Lm4ESD_lEEiiii.numbered_sgpr, 26
	.set _ZN2at6native12_GLOBAL__N_132replication_pad_forward_kernel2dIhEEvN5torch10headeronly6detail27GenericPackedTensorAccessorINS5_14TensorAccessorIN3c108ArrayRefIlEEKT_Lm3ENS4_16DefaultPtrTraitsElEENS_6detail16IndexBoundsCheckILm4ElEESC_Lm4ESD_lEENS6_INS7_ISA_SB_Lm3ESD_lEESH_SB_Lm4ESD_lEEiiii.num_named_barrier, 0
	.set _ZN2at6native12_GLOBAL__N_132replication_pad_forward_kernel2dIhEEvN5torch10headeronly6detail27GenericPackedTensorAccessorINS5_14TensorAccessorIN3c108ArrayRefIlEEKT_Lm3ENS4_16DefaultPtrTraitsElEENS_6detail16IndexBoundsCheckILm4ElEESC_Lm4ESD_lEENS6_INS7_ISA_SB_Lm3ESD_lEESH_SB_Lm4ESD_lEEiiii.private_seg_size, 0
	.set _ZN2at6native12_GLOBAL__N_132replication_pad_forward_kernel2dIhEEvN5torch10headeronly6detail27GenericPackedTensorAccessorINS5_14TensorAccessorIN3c108ArrayRefIlEEKT_Lm3ENS4_16DefaultPtrTraitsElEENS_6detail16IndexBoundsCheckILm4ElEESC_Lm4ESD_lEENS6_INS7_ISA_SB_Lm3ESD_lEESH_SB_Lm4ESD_lEEiiii.uses_vcc, 1
	.set _ZN2at6native12_GLOBAL__N_132replication_pad_forward_kernel2dIhEEvN5torch10headeronly6detail27GenericPackedTensorAccessorINS5_14TensorAccessorIN3c108ArrayRefIlEEKT_Lm3ENS4_16DefaultPtrTraitsElEENS_6detail16IndexBoundsCheckILm4ElEESC_Lm4ESD_lEENS6_INS7_ISA_SB_Lm3ESD_lEESH_SB_Lm4ESD_lEEiiii.uses_flat_scratch, 0
	.set _ZN2at6native12_GLOBAL__N_132replication_pad_forward_kernel2dIhEEvN5torch10headeronly6detail27GenericPackedTensorAccessorINS5_14TensorAccessorIN3c108ArrayRefIlEEKT_Lm3ENS4_16DefaultPtrTraitsElEENS_6detail16IndexBoundsCheckILm4ElEESC_Lm4ESD_lEENS6_INS7_ISA_SB_Lm3ESD_lEESH_SB_Lm4ESD_lEEiiii.has_dyn_sized_stack, 0
	.set _ZN2at6native12_GLOBAL__N_132replication_pad_forward_kernel2dIhEEvN5torch10headeronly6detail27GenericPackedTensorAccessorINS5_14TensorAccessorIN3c108ArrayRefIlEEKT_Lm3ENS4_16DefaultPtrTraitsElEENS_6detail16IndexBoundsCheckILm4ElEESC_Lm4ESD_lEENS6_INS7_ISA_SB_Lm3ESD_lEESH_SB_Lm4ESD_lEEiiii.has_recursion, 0
	.set _ZN2at6native12_GLOBAL__N_132replication_pad_forward_kernel2dIhEEvN5torch10headeronly6detail27GenericPackedTensorAccessorINS5_14TensorAccessorIN3c108ArrayRefIlEEKT_Lm3ENS4_16DefaultPtrTraitsElEENS_6detail16IndexBoundsCheckILm4ElEESC_Lm4ESD_lEENS6_INS7_ISA_SB_Lm3ESD_lEESH_SB_Lm4ESD_lEEiiii.has_indirect_call, 0
	.section	.AMDGPU.csdata,"",@progbits
; Kernel info:
; codeLenInByte = 1320
; TotalNumSgprs: 30
; NumVgprs: 13
; ScratchSize: 0
; MemoryBound: 0
; FloatMode: 240
; IeeeMode: 1
; LDSByteSize: 0 bytes/workgroup (compile time only)
; SGPRBlocks: 3
; VGPRBlocks: 3
; NumSGPRsForWavesPerEU: 30
; NumVGPRsForWavesPerEU: 13
; Occupancy: 10
; WaveLimiterHint : 1
; COMPUTE_PGM_RSRC2:SCRATCH_EN: 0
; COMPUTE_PGM_RSRC2:USER_SGPR: 6
; COMPUTE_PGM_RSRC2:TRAP_HANDLER: 0
; COMPUTE_PGM_RSRC2:TGID_X_EN: 1
; COMPUTE_PGM_RSRC2:TGID_Y_EN: 1
; COMPUTE_PGM_RSRC2:TGID_Z_EN: 1
; COMPUTE_PGM_RSRC2:TIDIG_COMP_CNT: 0
	.section	.text._ZN2at6native12_GLOBAL__N_132replication_pad_forward_kernel2dIaEEvN5torch10headeronly6detail27GenericPackedTensorAccessorINS5_14TensorAccessorIN3c108ArrayRefIlEEKT_Lm3ENS4_16DefaultPtrTraitsElEENS_6detail16IndexBoundsCheckILm4ElEESC_Lm4ESD_lEENS6_INS7_ISA_SB_Lm3ESD_lEESH_SB_Lm4ESD_lEEiiii,"axG",@progbits,_ZN2at6native12_GLOBAL__N_132replication_pad_forward_kernel2dIaEEvN5torch10headeronly6detail27GenericPackedTensorAccessorINS5_14TensorAccessorIN3c108ArrayRefIlEEKT_Lm3ENS4_16DefaultPtrTraitsElEENS_6detail16IndexBoundsCheckILm4ElEESC_Lm4ESD_lEENS6_INS7_ISA_SB_Lm3ESD_lEESH_SB_Lm4ESD_lEEiiii,comdat
	.globl	_ZN2at6native12_GLOBAL__N_132replication_pad_forward_kernel2dIaEEvN5torch10headeronly6detail27GenericPackedTensorAccessorINS5_14TensorAccessorIN3c108ArrayRefIlEEKT_Lm3ENS4_16DefaultPtrTraitsElEENS_6detail16IndexBoundsCheckILm4ElEESC_Lm4ESD_lEENS6_INS7_ISA_SB_Lm3ESD_lEESH_SB_Lm4ESD_lEEiiii ; -- Begin function _ZN2at6native12_GLOBAL__N_132replication_pad_forward_kernel2dIaEEvN5torch10headeronly6detail27GenericPackedTensorAccessorINS5_14TensorAccessorIN3c108ArrayRefIlEEKT_Lm3ENS4_16DefaultPtrTraitsElEENS_6detail16IndexBoundsCheckILm4ElEESC_Lm4ESD_lEENS6_INS7_ISA_SB_Lm3ESD_lEESH_SB_Lm4ESD_lEEiiii
	.p2align	8
	.type	_ZN2at6native12_GLOBAL__N_132replication_pad_forward_kernel2dIaEEvN5torch10headeronly6detail27GenericPackedTensorAccessorINS5_14TensorAccessorIN3c108ArrayRefIlEEKT_Lm3ENS4_16DefaultPtrTraitsElEENS_6detail16IndexBoundsCheckILm4ElEESC_Lm4ESD_lEENS6_INS7_ISA_SB_Lm3ESD_lEESH_SB_Lm4ESD_lEEiiii,@function
_ZN2at6native12_GLOBAL__N_132replication_pad_forward_kernel2dIaEEvN5torch10headeronly6detail27GenericPackedTensorAccessorINS5_14TensorAccessorIN3c108ArrayRefIlEEKT_Lm3ENS4_16DefaultPtrTraitsElEENS_6detail16IndexBoundsCheckILm4ElEESC_Lm4ESD_lEENS6_INS7_ISA_SB_Lm3ESD_lEESH_SB_Lm4ESD_lEEiiii: ; @_ZN2at6native12_GLOBAL__N_132replication_pad_forward_kernel2dIaEEvN5torch10headeronly6detail27GenericPackedTensorAccessorINS5_14TensorAccessorIN3c108ArrayRefIlEEKT_Lm3ENS4_16DefaultPtrTraitsElEENS_6detail16IndexBoundsCheckILm4ElEESC_Lm4ESD_lEENS6_INS7_ISA_SB_Lm3ESD_lEESH_SB_Lm4ESD_lEEiiii
; %bb.0:
	s_load_dword s9, s[4:5], 0xac
	s_load_dwordx4 s[0:3], s[4:5], 0x60
	s_waitcnt lgkmcnt(0)
	s_and_b32 s9, s9, 0xffff
	s_mul_i32 s6, s6, s9
	v_add_u32_e32 v0, s6, v0
	s_mul_i32 s1, s2, s1
	s_mul_hi_u32 s6, s2, s0
	s_add_i32 s1, s6, s1
	s_mul_i32 s6, s3, s0
	v_ashrrev_i32_e32 v1, 31, v0
	s_add_i32 s1, s1, s6
	s_mul_i32 s0, s2, s0
	v_cmp_gt_i64_e32 vcc, s[0:1], v[0:1]
	s_and_saveexec_b64 s[0:1], vcc
	s_cbranch_execz .LBB30_6
; %bb.1:
	v_or_b32_e32 v3, s3, v1
	v_mov_b32_e32 v2, 0
	v_cmp_ne_u64_e32 vcc, 0, v[2:3]
                                        ; implicit-def: $vgpr2_vgpr3
	s_and_saveexec_b64 s[0:1], vcc
	s_xor_b64 s[10:11], exec, s[0:1]
	s_cbranch_execz .LBB30_3
; %bb.2:
	s_ashr_i32 s12, s3, 31
	s_add_u32 s0, s2, s12
	s_mov_b32 s13, s12
	s_addc_u32 s1, s3, s12
	s_xor_b64 s[14:15], s[0:1], s[12:13]
	v_cvt_f32_u32_e32 v2, s14
	v_cvt_f32_u32_e32 v3, s15
	s_sub_u32 s6, 0, s14
	s_subb_u32 s9, 0, s15
	v_ashrrev_i32_e32 v6, 31, v1
	v_madmk_f32 v2, v3, 0x4f800000, v2
	v_rcp_f32_e32 v2, v2
	v_mul_f32_e32 v2, 0x5f7ffffc, v2
	v_mul_f32_e32 v3, 0x2f800000, v2
	v_trunc_f32_e32 v3, v3
	v_madmk_f32 v2, v3, 0xcf800000, v2
	v_cvt_u32_f32_e32 v3, v3
	v_cvt_u32_f32_e32 v2, v2
	v_readfirstlane_b32 s13, v3
	v_readfirstlane_b32 s0, v2
	s_mul_i32 s1, s6, s13
	s_mul_hi_u32 s17, s6, s0
	s_mul_i32 s16, s9, s0
	s_add_i32 s1, s17, s1
	s_add_i32 s1, s1, s16
	s_mul_i32 s18, s6, s0
	s_mul_i32 s17, s0, s1
	s_mul_hi_u32 s19, s0, s18
	s_mul_hi_u32 s16, s0, s1
	s_add_u32 s17, s19, s17
	s_addc_u32 s16, 0, s16
	s_mul_hi_u32 s20, s13, s18
	s_mul_i32 s18, s13, s18
	s_add_u32 s17, s17, s18
	s_mul_hi_u32 s19, s13, s1
	s_addc_u32 s16, s16, s20
	s_addc_u32 s17, s19, 0
	s_mul_i32 s1, s13, s1
	s_add_u32 s1, s16, s1
	s_addc_u32 s16, 0, s17
	s_add_u32 s17, s0, s1
	s_cselect_b64 s[0:1], -1, 0
	s_cmp_lg_u64 s[0:1], 0
	s_addc_u32 s13, s13, s16
	s_mul_i32 s0, s6, s13
	s_mul_hi_u32 s1, s6, s17
	s_add_i32 s0, s1, s0
	s_mul_i32 s9, s9, s17
	s_add_i32 s0, s0, s9
	s_mul_i32 s6, s6, s17
	s_mul_hi_u32 s9, s13, s6
	s_mul_i32 s16, s13, s6
	s_mul_i32 s19, s17, s0
	s_mul_hi_u32 s6, s17, s6
	s_mul_hi_u32 s18, s17, s0
	s_add_u32 s6, s6, s19
	s_addc_u32 s18, 0, s18
	s_add_u32 s6, s6, s16
	s_mul_hi_u32 s1, s13, s0
	s_addc_u32 s6, s18, s9
	s_addc_u32 s1, s1, 0
	s_mul_i32 s0, s13, s0
	s_add_u32 s0, s6, s0
	s_addc_u32 s6, 0, s1
	s_add_u32 s9, s17, s0
	s_cselect_b64 s[0:1], -1, 0
	s_cmp_lg_u64 s[0:1], 0
	v_add_co_u32_e32 v2, vcc, v0, v6
	s_addc_u32 s6, s13, s6
	v_xor_b32_e32 v7, v2, v6
	v_mad_u64_u32 v[2:3], s[0:1], v7, s6, 0
	v_mul_hi_u32 v5, v7, s9
	v_addc_co_u32_e32 v4, vcc, v1, v6, vcc
	v_xor_b32_e32 v8, v4, v6
	v_add_co_u32_e32 v9, vcc, v5, v2
	v_addc_co_u32_e32 v10, vcc, 0, v3, vcc
	v_mad_u64_u32 v[2:3], s[0:1], v8, s9, 0
	v_mad_u64_u32 v[4:5], s[0:1], v8, s6, 0
	v_add_co_u32_e32 v2, vcc, v9, v2
	v_addc_co_u32_e32 v2, vcc, v10, v3, vcc
	v_addc_co_u32_e32 v3, vcc, 0, v5, vcc
	v_add_co_u32_e32 v4, vcc, v2, v4
	v_addc_co_u32_e32 v5, vcc, 0, v3, vcc
	v_mul_lo_u32 v9, s15, v4
	v_mul_lo_u32 v10, s14, v5
	v_mad_u64_u32 v[2:3], s[0:1], s14, v4, 0
	v_add3_u32 v3, v3, v10, v9
	v_sub_u32_e32 v9, v8, v3
	v_mov_b32_e32 v10, s15
	v_sub_co_u32_e32 v2, vcc, v7, v2
	v_subb_co_u32_e64 v7, s[0:1], v9, v10, vcc
	v_subrev_co_u32_e64 v9, s[0:1], s14, v2
	v_subbrev_co_u32_e64 v7, s[0:1], 0, v7, s[0:1]
	v_cmp_le_u32_e64 s[0:1], s15, v7
	v_cndmask_b32_e64 v10, 0, -1, s[0:1]
	v_cmp_le_u32_e64 s[0:1], s14, v9
	v_cndmask_b32_e64 v9, 0, -1, s[0:1]
	v_cmp_eq_u32_e64 s[0:1], s15, v7
	v_cndmask_b32_e64 v7, v10, v9, s[0:1]
	v_add_co_u32_e64 v9, s[0:1], 2, v4
	v_subb_co_u32_e32 v3, vcc, v8, v3, vcc
	v_addc_co_u32_e64 v10, s[0:1], 0, v5, s[0:1]
	v_cmp_le_u32_e32 vcc, s15, v3
	v_add_co_u32_e64 v11, s[0:1], 1, v4
	v_cndmask_b32_e64 v8, 0, -1, vcc
	v_cmp_le_u32_e32 vcc, s14, v2
	v_addc_co_u32_e64 v12, s[0:1], 0, v5, s[0:1]
	v_cndmask_b32_e64 v2, 0, -1, vcc
	v_cmp_eq_u32_e32 vcc, s15, v3
	v_cmp_ne_u32_e64 s[0:1], 0, v7
	v_cndmask_b32_e32 v2, v8, v2, vcc
	v_cndmask_b32_e64 v7, v12, v10, s[0:1]
	v_cmp_ne_u32_e32 vcc, 0, v2
	v_cndmask_b32_e64 v3, v11, v9, s[0:1]
	v_cndmask_b32_e32 v2, v5, v7, vcc
	v_cndmask_b32_e32 v3, v4, v3, vcc
	v_xor_b32_e32 v4, s12, v6
	v_xor_b32_e32 v5, v2, v4
	;; [unrolled: 1-line block ×3, first 2 shown]
	v_sub_co_u32_e32 v2, vcc, v2, v4
	v_subb_co_u32_e32 v3, vcc, v5, v4, vcc
.LBB30_3:
	s_andn2_saveexec_b64 s[0:1], s[10:11]
	s_cbranch_execz .LBB30_5
; %bb.4:
	v_cvt_f32_u32_e32 v2, s2
	s_sub_i32 s6, 0, s2
	v_rcp_iflag_f32_e32 v2, v2
	v_mul_f32_e32 v2, 0x4f7ffffe, v2
	v_cvt_u32_f32_e32 v2, v2
	v_mul_lo_u32 v3, s6, v2
	v_mul_hi_u32 v3, v2, v3
	v_add_u32_e32 v2, v2, v3
	v_mul_hi_u32 v2, v0, v2
	v_mul_lo_u32 v3, v2, s2
	v_add_u32_e32 v4, 1, v2
	v_sub_u32_e32 v3, v0, v3
	v_subrev_u32_e32 v5, s2, v3
	v_cmp_le_u32_e32 vcc, s2, v3
	v_cndmask_b32_e32 v3, v3, v5, vcc
	v_cndmask_b32_e32 v2, v2, v4, vcc
	v_add_u32_e32 v4, 1, v2
	v_cmp_le_u32_e32 vcc, s2, v3
	v_cndmask_b32_e32 v2, v2, v4, vcc
	v_mov_b32_e32 v3, 0
.LBB30_5:
	s_or_b64 exec, exec, s[0:1]
	s_load_dwordx4 s[12:15], s[4:5], 0x90
	s_load_dwordx8 s[16:23], s[4:5], 0x18
	v_mul_lo_u32 v5, v3, s2
	v_mad_u64_u32 v[3:4], s[0:1], v2, s2, 0
	s_waitcnt lgkmcnt(0)
	s_sub_i32 s0, 0, s13
	v_mul_lo_u32 v6, v2, s3
	s_add_i32 s24, s15, s8
	s_max_i32 s8, s0, 0
	s_max_i32 s10, s13, 0
	s_sub_i32 s0, 0, s12
	s_sub_i32 s8, s8, s10
	s_add_i32 s10, s12, s16
	v_sub_co_u32_e32 v3, vcc, v0, v3
	s_max_i32 s9, s0, 0
	s_max_i32 s11, s12, 0
	v_max_i32_e32 v0, s12, v2
	s_add_i32 s10, s10, -1
	s_add_i32 s25, s14, s7
	s_load_dwordx2 s[6:7], s[4:5], 0x0
	s_load_dwordx4 s[0:3], s[4:5], 0x38
	v_min_i32_e32 v0, s10, v0
	s_sub_i32 s9, s9, s11
	s_ashr_i32 s16, s24, 31
	v_add3_u32 v4, v4, v6, v5
	v_add_u32_e32 v5, s9, v0
	s_mul_i32 s9, s20, s16
	s_mul_hi_u32 s10, s20, s24
	s_add_i32 s14, s13, s18
	s_add_i32 s9, s10, s9
	s_mul_i32 s10, s21, s24
	s_add_i32 s14, s14, -1
	s_add_i32 s9, s9, s10
	s_mul_i32 s10, s20, s24
	s_waitcnt lgkmcnt(0)
	s_add_u32 s6, s6, s10
	s_addc_u32 s7, s7, s9
	s_ashr_i32 s17, s25, 31
	s_mul_i32 s9, s22, s17
	s_mul_hi_u32 s10, s22, s25
	s_add_i32 s9, s10, s9
	s_mul_i32 s10, s23, s25
	s_add_i32 s9, s9, s10
	s_mul_i32 s10, s22, s25
	s_add_u32 s6, s6, s10
	v_ashrrev_i32_e32 v0, 31, v5
	v_subb_co_u32_e32 v4, vcc, v1, v4, vcc
	s_addc_u32 s7, s7, s9
	v_mul_lo_u32 v6, s0, v0
	v_mov_b32_e32 v0, s6
	v_mov_b32_e32 v1, s7
	v_mad_u64_u32 v[0:1], s[6:7], s0, v5, v[0:1]
	v_mul_lo_u32 v5, s1, v5
	v_max_i32_e32 v7, s13, v3
	v_min_i32_e32 v7, s14, v7
	v_add_u32_e32 v7, s8, v7
	v_add3_u32 v1, v5, v1, v6
	v_ashrrev_i32_e32 v5, 31, v7
	v_mad_u64_u32 v[0:1], s[0:1], s2, v7, v[0:1]
	v_mul_lo_u32 v5, s2, v5
	v_mul_lo_u32 v6, s3, v7
	v_add3_u32 v1, v6, v1, v5
	global_load_ubyte v5, v[0:1], off
	s_load_dwordx8 s[8:15], s[4:5], 0x70
	s_load_dwordx2 s[0:1], s[4:5], 0x48
	v_ashrrev_i32_e32 v6, 31, v2
	s_waitcnt lgkmcnt(0)
	s_mul_i32 s2, s8, s16
	s_mul_hi_u32 s3, s8, s24
	s_add_i32 s2, s3, s2
	s_mul_i32 s3, s9, s24
	s_add_i32 s2, s2, s3
	s_mul_i32 s3, s8, s24
	s_add_u32 s0, s0, s3
	s_addc_u32 s1, s1, s2
	s_mul_i32 s2, s10, s17
	s_mul_hi_u32 s3, s10, s25
	s_add_i32 s2, s3, s2
	s_mul_i32 s3, s11, s25
	s_add_i32 s2, s2, s3
	s_mul_i32 s3, s10, s25
	s_add_u32 s0, s0, s3
	s_addc_u32 s1, s1, s2
	v_mov_b32_e32 v0, s0
	v_mov_b32_e32 v1, s1
	v_mad_u64_u32 v[0:1], s[0:1], s12, v2, v[0:1]
	v_mul_lo_u32 v2, s13, v2
	v_mul_lo_u32 v6, s12, v6
	v_add3_u32 v1, v2, v1, v6
	v_mad_u64_u32 v[0:1], s[0:1], s14, v3, v[0:1]
	v_mul_lo_u32 v2, s14, v4
	v_mul_lo_u32 v3, s15, v3
	v_add3_u32 v1, v3, v1, v2
	s_waitcnt vmcnt(0)
	global_store_byte v[0:1], v5, off
.LBB30_6:
	s_endpgm
	.section	.rodata,"a",@progbits
	.p2align	6, 0x0
	.amdhsa_kernel _ZN2at6native12_GLOBAL__N_132replication_pad_forward_kernel2dIaEEvN5torch10headeronly6detail27GenericPackedTensorAccessorINS5_14TensorAccessorIN3c108ArrayRefIlEEKT_Lm3ENS4_16DefaultPtrTraitsElEENS_6detail16IndexBoundsCheckILm4ElEESC_Lm4ESD_lEENS6_INS7_ISA_SB_Lm3ESD_lEESH_SB_Lm4ESD_lEEiiii
		.amdhsa_group_segment_fixed_size 0
		.amdhsa_private_segment_fixed_size 0
		.amdhsa_kernarg_size 416
		.amdhsa_user_sgpr_count 6
		.amdhsa_user_sgpr_private_segment_buffer 1
		.amdhsa_user_sgpr_dispatch_ptr 0
		.amdhsa_user_sgpr_queue_ptr 0
		.amdhsa_user_sgpr_kernarg_segment_ptr 1
		.amdhsa_user_sgpr_dispatch_id 0
		.amdhsa_user_sgpr_flat_scratch_init 0
		.amdhsa_user_sgpr_private_segment_size 0
		.amdhsa_uses_dynamic_stack 0
		.amdhsa_system_sgpr_private_segment_wavefront_offset 0
		.amdhsa_system_sgpr_workgroup_id_x 1
		.amdhsa_system_sgpr_workgroup_id_y 1
		.amdhsa_system_sgpr_workgroup_id_z 1
		.amdhsa_system_sgpr_workgroup_info 0
		.amdhsa_system_vgpr_workitem_id 0
		.amdhsa_next_free_vgpr 13
		.amdhsa_next_free_sgpr 26
		.amdhsa_reserve_vcc 1
		.amdhsa_reserve_flat_scratch 0
		.amdhsa_float_round_mode_32 0
		.amdhsa_float_round_mode_16_64 0
		.amdhsa_float_denorm_mode_32 3
		.amdhsa_float_denorm_mode_16_64 3
		.amdhsa_dx10_clamp 1
		.amdhsa_ieee_mode 1
		.amdhsa_fp16_overflow 0
		.amdhsa_exception_fp_ieee_invalid_op 0
		.amdhsa_exception_fp_denorm_src 0
		.amdhsa_exception_fp_ieee_div_zero 0
		.amdhsa_exception_fp_ieee_overflow 0
		.amdhsa_exception_fp_ieee_underflow 0
		.amdhsa_exception_fp_ieee_inexact 0
		.amdhsa_exception_int_div_zero 0
	.end_amdhsa_kernel
	.section	.text._ZN2at6native12_GLOBAL__N_132replication_pad_forward_kernel2dIaEEvN5torch10headeronly6detail27GenericPackedTensorAccessorINS5_14TensorAccessorIN3c108ArrayRefIlEEKT_Lm3ENS4_16DefaultPtrTraitsElEENS_6detail16IndexBoundsCheckILm4ElEESC_Lm4ESD_lEENS6_INS7_ISA_SB_Lm3ESD_lEESH_SB_Lm4ESD_lEEiiii,"axG",@progbits,_ZN2at6native12_GLOBAL__N_132replication_pad_forward_kernel2dIaEEvN5torch10headeronly6detail27GenericPackedTensorAccessorINS5_14TensorAccessorIN3c108ArrayRefIlEEKT_Lm3ENS4_16DefaultPtrTraitsElEENS_6detail16IndexBoundsCheckILm4ElEESC_Lm4ESD_lEENS6_INS7_ISA_SB_Lm3ESD_lEESH_SB_Lm4ESD_lEEiiii,comdat
.Lfunc_end30:
	.size	_ZN2at6native12_GLOBAL__N_132replication_pad_forward_kernel2dIaEEvN5torch10headeronly6detail27GenericPackedTensorAccessorINS5_14TensorAccessorIN3c108ArrayRefIlEEKT_Lm3ENS4_16DefaultPtrTraitsElEENS_6detail16IndexBoundsCheckILm4ElEESC_Lm4ESD_lEENS6_INS7_ISA_SB_Lm3ESD_lEESH_SB_Lm4ESD_lEEiiii, .Lfunc_end30-_ZN2at6native12_GLOBAL__N_132replication_pad_forward_kernel2dIaEEvN5torch10headeronly6detail27GenericPackedTensorAccessorINS5_14TensorAccessorIN3c108ArrayRefIlEEKT_Lm3ENS4_16DefaultPtrTraitsElEENS_6detail16IndexBoundsCheckILm4ElEESC_Lm4ESD_lEENS6_INS7_ISA_SB_Lm3ESD_lEESH_SB_Lm4ESD_lEEiiii
                                        ; -- End function
	.set _ZN2at6native12_GLOBAL__N_132replication_pad_forward_kernel2dIaEEvN5torch10headeronly6detail27GenericPackedTensorAccessorINS5_14TensorAccessorIN3c108ArrayRefIlEEKT_Lm3ENS4_16DefaultPtrTraitsElEENS_6detail16IndexBoundsCheckILm4ElEESC_Lm4ESD_lEENS6_INS7_ISA_SB_Lm3ESD_lEESH_SB_Lm4ESD_lEEiiii.num_vgpr, 13
	.set _ZN2at6native12_GLOBAL__N_132replication_pad_forward_kernel2dIaEEvN5torch10headeronly6detail27GenericPackedTensorAccessorINS5_14TensorAccessorIN3c108ArrayRefIlEEKT_Lm3ENS4_16DefaultPtrTraitsElEENS_6detail16IndexBoundsCheckILm4ElEESC_Lm4ESD_lEENS6_INS7_ISA_SB_Lm3ESD_lEESH_SB_Lm4ESD_lEEiiii.num_agpr, 0
	.set _ZN2at6native12_GLOBAL__N_132replication_pad_forward_kernel2dIaEEvN5torch10headeronly6detail27GenericPackedTensorAccessorINS5_14TensorAccessorIN3c108ArrayRefIlEEKT_Lm3ENS4_16DefaultPtrTraitsElEENS_6detail16IndexBoundsCheckILm4ElEESC_Lm4ESD_lEENS6_INS7_ISA_SB_Lm3ESD_lEESH_SB_Lm4ESD_lEEiiii.numbered_sgpr, 26
	.set _ZN2at6native12_GLOBAL__N_132replication_pad_forward_kernel2dIaEEvN5torch10headeronly6detail27GenericPackedTensorAccessorINS5_14TensorAccessorIN3c108ArrayRefIlEEKT_Lm3ENS4_16DefaultPtrTraitsElEENS_6detail16IndexBoundsCheckILm4ElEESC_Lm4ESD_lEENS6_INS7_ISA_SB_Lm3ESD_lEESH_SB_Lm4ESD_lEEiiii.num_named_barrier, 0
	.set _ZN2at6native12_GLOBAL__N_132replication_pad_forward_kernel2dIaEEvN5torch10headeronly6detail27GenericPackedTensorAccessorINS5_14TensorAccessorIN3c108ArrayRefIlEEKT_Lm3ENS4_16DefaultPtrTraitsElEENS_6detail16IndexBoundsCheckILm4ElEESC_Lm4ESD_lEENS6_INS7_ISA_SB_Lm3ESD_lEESH_SB_Lm4ESD_lEEiiii.private_seg_size, 0
	.set _ZN2at6native12_GLOBAL__N_132replication_pad_forward_kernel2dIaEEvN5torch10headeronly6detail27GenericPackedTensorAccessorINS5_14TensorAccessorIN3c108ArrayRefIlEEKT_Lm3ENS4_16DefaultPtrTraitsElEENS_6detail16IndexBoundsCheckILm4ElEESC_Lm4ESD_lEENS6_INS7_ISA_SB_Lm3ESD_lEESH_SB_Lm4ESD_lEEiiii.uses_vcc, 1
	.set _ZN2at6native12_GLOBAL__N_132replication_pad_forward_kernel2dIaEEvN5torch10headeronly6detail27GenericPackedTensorAccessorINS5_14TensorAccessorIN3c108ArrayRefIlEEKT_Lm3ENS4_16DefaultPtrTraitsElEENS_6detail16IndexBoundsCheckILm4ElEESC_Lm4ESD_lEENS6_INS7_ISA_SB_Lm3ESD_lEESH_SB_Lm4ESD_lEEiiii.uses_flat_scratch, 0
	.set _ZN2at6native12_GLOBAL__N_132replication_pad_forward_kernel2dIaEEvN5torch10headeronly6detail27GenericPackedTensorAccessorINS5_14TensorAccessorIN3c108ArrayRefIlEEKT_Lm3ENS4_16DefaultPtrTraitsElEENS_6detail16IndexBoundsCheckILm4ElEESC_Lm4ESD_lEENS6_INS7_ISA_SB_Lm3ESD_lEESH_SB_Lm4ESD_lEEiiii.has_dyn_sized_stack, 0
	.set _ZN2at6native12_GLOBAL__N_132replication_pad_forward_kernel2dIaEEvN5torch10headeronly6detail27GenericPackedTensorAccessorINS5_14TensorAccessorIN3c108ArrayRefIlEEKT_Lm3ENS4_16DefaultPtrTraitsElEENS_6detail16IndexBoundsCheckILm4ElEESC_Lm4ESD_lEENS6_INS7_ISA_SB_Lm3ESD_lEESH_SB_Lm4ESD_lEEiiii.has_recursion, 0
	.set _ZN2at6native12_GLOBAL__N_132replication_pad_forward_kernel2dIaEEvN5torch10headeronly6detail27GenericPackedTensorAccessorINS5_14TensorAccessorIN3c108ArrayRefIlEEKT_Lm3ENS4_16DefaultPtrTraitsElEENS_6detail16IndexBoundsCheckILm4ElEESC_Lm4ESD_lEENS6_INS7_ISA_SB_Lm3ESD_lEESH_SB_Lm4ESD_lEEiiii.has_indirect_call, 0
	.section	.AMDGPU.csdata,"",@progbits
; Kernel info:
; codeLenInByte = 1320
; TotalNumSgprs: 30
; NumVgprs: 13
; ScratchSize: 0
; MemoryBound: 0
; FloatMode: 240
; IeeeMode: 1
; LDSByteSize: 0 bytes/workgroup (compile time only)
; SGPRBlocks: 3
; VGPRBlocks: 3
; NumSGPRsForWavesPerEU: 30
; NumVGPRsForWavesPerEU: 13
; Occupancy: 10
; WaveLimiterHint : 1
; COMPUTE_PGM_RSRC2:SCRATCH_EN: 0
; COMPUTE_PGM_RSRC2:USER_SGPR: 6
; COMPUTE_PGM_RSRC2:TRAP_HANDLER: 0
; COMPUTE_PGM_RSRC2:TGID_X_EN: 1
; COMPUTE_PGM_RSRC2:TGID_Y_EN: 1
; COMPUTE_PGM_RSRC2:TGID_Z_EN: 1
; COMPUTE_PGM_RSRC2:TIDIG_COMP_CNT: 0
	.section	.text._ZN2at6native12_GLOBAL__N_132replication_pad_forward_kernel2dIiEEvN5torch10headeronly6detail27GenericPackedTensorAccessorINS5_14TensorAccessorIN3c108ArrayRefIlEEKT_Lm3ENS4_16DefaultPtrTraitsElEENS_6detail16IndexBoundsCheckILm4ElEESC_Lm4ESD_lEENS6_INS7_ISA_SB_Lm3ESD_lEESH_SB_Lm4ESD_lEEiiii,"axG",@progbits,_ZN2at6native12_GLOBAL__N_132replication_pad_forward_kernel2dIiEEvN5torch10headeronly6detail27GenericPackedTensorAccessorINS5_14TensorAccessorIN3c108ArrayRefIlEEKT_Lm3ENS4_16DefaultPtrTraitsElEENS_6detail16IndexBoundsCheckILm4ElEESC_Lm4ESD_lEENS6_INS7_ISA_SB_Lm3ESD_lEESH_SB_Lm4ESD_lEEiiii,comdat
	.globl	_ZN2at6native12_GLOBAL__N_132replication_pad_forward_kernel2dIiEEvN5torch10headeronly6detail27GenericPackedTensorAccessorINS5_14TensorAccessorIN3c108ArrayRefIlEEKT_Lm3ENS4_16DefaultPtrTraitsElEENS_6detail16IndexBoundsCheckILm4ElEESC_Lm4ESD_lEENS6_INS7_ISA_SB_Lm3ESD_lEESH_SB_Lm4ESD_lEEiiii ; -- Begin function _ZN2at6native12_GLOBAL__N_132replication_pad_forward_kernel2dIiEEvN5torch10headeronly6detail27GenericPackedTensorAccessorINS5_14TensorAccessorIN3c108ArrayRefIlEEKT_Lm3ENS4_16DefaultPtrTraitsElEENS_6detail16IndexBoundsCheckILm4ElEESC_Lm4ESD_lEENS6_INS7_ISA_SB_Lm3ESD_lEESH_SB_Lm4ESD_lEEiiii
	.p2align	8
	.type	_ZN2at6native12_GLOBAL__N_132replication_pad_forward_kernel2dIiEEvN5torch10headeronly6detail27GenericPackedTensorAccessorINS5_14TensorAccessorIN3c108ArrayRefIlEEKT_Lm3ENS4_16DefaultPtrTraitsElEENS_6detail16IndexBoundsCheckILm4ElEESC_Lm4ESD_lEENS6_INS7_ISA_SB_Lm3ESD_lEESH_SB_Lm4ESD_lEEiiii,@function
_ZN2at6native12_GLOBAL__N_132replication_pad_forward_kernel2dIiEEvN5torch10headeronly6detail27GenericPackedTensorAccessorINS5_14TensorAccessorIN3c108ArrayRefIlEEKT_Lm3ENS4_16DefaultPtrTraitsElEENS_6detail16IndexBoundsCheckILm4ElEESC_Lm4ESD_lEENS6_INS7_ISA_SB_Lm3ESD_lEESH_SB_Lm4ESD_lEEiiii: ; @_ZN2at6native12_GLOBAL__N_132replication_pad_forward_kernel2dIiEEvN5torch10headeronly6detail27GenericPackedTensorAccessorINS5_14TensorAccessorIN3c108ArrayRefIlEEKT_Lm3ENS4_16DefaultPtrTraitsElEENS_6detail16IndexBoundsCheckILm4ElEESC_Lm4ESD_lEENS6_INS7_ISA_SB_Lm3ESD_lEESH_SB_Lm4ESD_lEEiiii
; %bb.0:
	s_load_dword s9, s[4:5], 0xac
	s_load_dwordx4 s[0:3], s[4:5], 0x60
	s_waitcnt lgkmcnt(0)
	s_and_b32 s9, s9, 0xffff
	s_mul_i32 s6, s6, s9
	v_add_u32_e32 v0, s6, v0
	s_mul_i32 s1, s2, s1
	s_mul_hi_u32 s6, s2, s0
	s_add_i32 s1, s6, s1
	s_mul_i32 s6, s3, s0
	v_ashrrev_i32_e32 v1, 31, v0
	s_add_i32 s1, s1, s6
	s_mul_i32 s0, s2, s0
	v_cmp_gt_i64_e32 vcc, s[0:1], v[0:1]
	s_and_saveexec_b64 s[0:1], vcc
	s_cbranch_execz .LBB31_6
; %bb.1:
	v_or_b32_e32 v3, s3, v1
	v_mov_b32_e32 v2, 0
	v_cmp_ne_u64_e32 vcc, 0, v[2:3]
                                        ; implicit-def: $vgpr2_vgpr3
	s_and_saveexec_b64 s[0:1], vcc
	s_xor_b64 s[10:11], exec, s[0:1]
	s_cbranch_execz .LBB31_3
; %bb.2:
	s_ashr_i32 s12, s3, 31
	s_add_u32 s0, s2, s12
	s_mov_b32 s13, s12
	s_addc_u32 s1, s3, s12
	s_xor_b64 s[14:15], s[0:1], s[12:13]
	v_cvt_f32_u32_e32 v2, s14
	v_cvt_f32_u32_e32 v3, s15
	s_sub_u32 s6, 0, s14
	s_subb_u32 s9, 0, s15
	v_ashrrev_i32_e32 v6, 31, v1
	v_madmk_f32 v2, v3, 0x4f800000, v2
	v_rcp_f32_e32 v2, v2
	v_mul_f32_e32 v2, 0x5f7ffffc, v2
	v_mul_f32_e32 v3, 0x2f800000, v2
	v_trunc_f32_e32 v3, v3
	v_madmk_f32 v2, v3, 0xcf800000, v2
	v_cvt_u32_f32_e32 v3, v3
	v_cvt_u32_f32_e32 v2, v2
	v_readfirstlane_b32 s13, v3
	v_readfirstlane_b32 s0, v2
	s_mul_i32 s1, s6, s13
	s_mul_hi_u32 s17, s6, s0
	s_mul_i32 s16, s9, s0
	s_add_i32 s1, s17, s1
	s_add_i32 s1, s1, s16
	s_mul_i32 s18, s6, s0
	s_mul_i32 s17, s0, s1
	s_mul_hi_u32 s19, s0, s18
	s_mul_hi_u32 s16, s0, s1
	s_add_u32 s17, s19, s17
	s_addc_u32 s16, 0, s16
	s_mul_hi_u32 s20, s13, s18
	s_mul_i32 s18, s13, s18
	s_add_u32 s17, s17, s18
	s_mul_hi_u32 s19, s13, s1
	s_addc_u32 s16, s16, s20
	s_addc_u32 s17, s19, 0
	s_mul_i32 s1, s13, s1
	s_add_u32 s1, s16, s1
	s_addc_u32 s16, 0, s17
	s_add_u32 s17, s0, s1
	s_cselect_b64 s[0:1], -1, 0
	s_cmp_lg_u64 s[0:1], 0
	s_addc_u32 s13, s13, s16
	s_mul_i32 s0, s6, s13
	s_mul_hi_u32 s1, s6, s17
	s_add_i32 s0, s1, s0
	s_mul_i32 s9, s9, s17
	s_add_i32 s0, s0, s9
	s_mul_i32 s6, s6, s17
	s_mul_hi_u32 s9, s13, s6
	s_mul_i32 s16, s13, s6
	s_mul_i32 s19, s17, s0
	s_mul_hi_u32 s6, s17, s6
	s_mul_hi_u32 s18, s17, s0
	s_add_u32 s6, s6, s19
	s_addc_u32 s18, 0, s18
	s_add_u32 s6, s6, s16
	s_mul_hi_u32 s1, s13, s0
	s_addc_u32 s6, s18, s9
	s_addc_u32 s1, s1, 0
	s_mul_i32 s0, s13, s0
	s_add_u32 s0, s6, s0
	s_addc_u32 s6, 0, s1
	s_add_u32 s9, s17, s0
	s_cselect_b64 s[0:1], -1, 0
	s_cmp_lg_u64 s[0:1], 0
	v_add_co_u32_e32 v2, vcc, v0, v6
	s_addc_u32 s6, s13, s6
	v_xor_b32_e32 v7, v2, v6
	v_mad_u64_u32 v[2:3], s[0:1], v7, s6, 0
	v_mul_hi_u32 v5, v7, s9
	v_addc_co_u32_e32 v4, vcc, v1, v6, vcc
	v_xor_b32_e32 v8, v4, v6
	v_add_co_u32_e32 v9, vcc, v5, v2
	v_addc_co_u32_e32 v10, vcc, 0, v3, vcc
	v_mad_u64_u32 v[2:3], s[0:1], v8, s9, 0
	v_mad_u64_u32 v[4:5], s[0:1], v8, s6, 0
	v_add_co_u32_e32 v2, vcc, v9, v2
	v_addc_co_u32_e32 v2, vcc, v10, v3, vcc
	v_addc_co_u32_e32 v3, vcc, 0, v5, vcc
	v_add_co_u32_e32 v4, vcc, v2, v4
	v_addc_co_u32_e32 v5, vcc, 0, v3, vcc
	v_mul_lo_u32 v9, s15, v4
	v_mul_lo_u32 v10, s14, v5
	v_mad_u64_u32 v[2:3], s[0:1], s14, v4, 0
	v_add3_u32 v3, v3, v10, v9
	v_sub_u32_e32 v9, v8, v3
	v_mov_b32_e32 v10, s15
	v_sub_co_u32_e32 v2, vcc, v7, v2
	v_subb_co_u32_e64 v7, s[0:1], v9, v10, vcc
	v_subrev_co_u32_e64 v9, s[0:1], s14, v2
	v_subbrev_co_u32_e64 v7, s[0:1], 0, v7, s[0:1]
	v_cmp_le_u32_e64 s[0:1], s15, v7
	v_cndmask_b32_e64 v10, 0, -1, s[0:1]
	v_cmp_le_u32_e64 s[0:1], s14, v9
	v_cndmask_b32_e64 v9, 0, -1, s[0:1]
	v_cmp_eq_u32_e64 s[0:1], s15, v7
	v_cndmask_b32_e64 v7, v10, v9, s[0:1]
	v_add_co_u32_e64 v9, s[0:1], 2, v4
	v_subb_co_u32_e32 v3, vcc, v8, v3, vcc
	v_addc_co_u32_e64 v10, s[0:1], 0, v5, s[0:1]
	v_cmp_le_u32_e32 vcc, s15, v3
	v_add_co_u32_e64 v11, s[0:1], 1, v4
	v_cndmask_b32_e64 v8, 0, -1, vcc
	v_cmp_le_u32_e32 vcc, s14, v2
	v_addc_co_u32_e64 v12, s[0:1], 0, v5, s[0:1]
	v_cndmask_b32_e64 v2, 0, -1, vcc
	v_cmp_eq_u32_e32 vcc, s15, v3
	v_cmp_ne_u32_e64 s[0:1], 0, v7
	v_cndmask_b32_e32 v2, v8, v2, vcc
	v_cndmask_b32_e64 v7, v12, v10, s[0:1]
	v_cmp_ne_u32_e32 vcc, 0, v2
	v_cndmask_b32_e64 v3, v11, v9, s[0:1]
	v_cndmask_b32_e32 v2, v5, v7, vcc
	v_cndmask_b32_e32 v3, v4, v3, vcc
	v_xor_b32_e32 v4, s12, v6
	v_xor_b32_e32 v5, v2, v4
	;; [unrolled: 1-line block ×3, first 2 shown]
	v_sub_co_u32_e32 v2, vcc, v2, v4
	v_subb_co_u32_e32 v3, vcc, v5, v4, vcc
.LBB31_3:
	s_andn2_saveexec_b64 s[0:1], s[10:11]
	s_cbranch_execz .LBB31_5
; %bb.4:
	v_cvt_f32_u32_e32 v2, s2
	s_sub_i32 s6, 0, s2
	v_rcp_iflag_f32_e32 v2, v2
	v_mul_f32_e32 v2, 0x4f7ffffe, v2
	v_cvt_u32_f32_e32 v2, v2
	v_mul_lo_u32 v3, s6, v2
	v_mul_hi_u32 v3, v2, v3
	v_add_u32_e32 v2, v2, v3
	v_mul_hi_u32 v2, v0, v2
	v_mul_lo_u32 v3, v2, s2
	v_add_u32_e32 v4, 1, v2
	v_sub_u32_e32 v3, v0, v3
	v_subrev_u32_e32 v5, s2, v3
	v_cmp_le_u32_e32 vcc, s2, v3
	v_cndmask_b32_e32 v3, v3, v5, vcc
	v_cndmask_b32_e32 v2, v2, v4, vcc
	v_add_u32_e32 v4, 1, v2
	v_cmp_le_u32_e32 vcc, s2, v3
	v_cndmask_b32_e32 v2, v2, v4, vcc
	v_mov_b32_e32 v3, 0
.LBB31_5:
	s_or_b64 exec, exec, s[0:1]
	s_load_dwordx4 s[16:19], s[4:5], 0x90
	v_mul_lo_u32 v5, v3, s2
	v_mul_lo_u32 v6, v2, s3
	v_mad_u64_u32 v[3:4], s[0:1], v2, s2, 0
	s_waitcnt lgkmcnt(0)
	s_add_i32 s19, s19, s8
	s_load_dwordx8 s[8:15], s[4:5], 0x18
	v_add3_u32 v4, v4, v6, v5
	v_sub_co_u32_e32 v5, vcc, v0, v3
	s_sub_i32 s0, 0, s17
	s_waitcnt lgkmcnt(0)
	s_add_i32 s10, s17, s10
	s_max_i32 s20, s0, 0
	s_max_i32 s22, s17, 0
	v_max_i32_e32 v0, s17, v5
	s_add_i32 s10, s10, -1
	s_sub_i32 s0, 0, s16
	v_min_i32_e32 v0, s10, v0
	s_sub_i32 s10, s20, s22
	s_add_i32 s8, s16, s8
	s_max_i32 s21, s0, 0
	s_max_i32 s9, s16, 0
	v_add_u32_e32 v3, s10, v0
	v_max_i32_e32 v0, s16, v2
	s_add_i32 s8, s8, -1
	v_min_i32_e32 v0, s8, v0
	s_sub_i32 s8, s21, s9
	s_ashr_i32 s16, s19, 31
	s_add_i32 s18, s18, s7
	s_load_dwordx2 s[6:7], s[4:5], 0x0
	s_load_dwordx4 s[0:3], s[4:5], 0x38
	v_add_u32_e32 v0, s8, v0
	s_mul_i32 s8, s12, s16
	s_mul_hi_u32 s9, s12, s19
	s_add_i32 s8, s9, s8
	s_mul_i32 s9, s13, s19
	s_add_i32 s9, s8, s9
	s_mul_i32 s8, s12, s19
	s_lshl_b64 s[8:9], s[8:9], 2
	s_waitcnt lgkmcnt(0)
	s_add_u32 s8, s6, s8
	s_addc_u32 s9, s7, s9
	s_ashr_i32 s17, s18, 31
	v_subb_co_u32_e32 v6, vcc, v1, v4, vcc
	s_mul_i32 s6, s14, s17
	s_mul_hi_u32 s7, s14, s18
	v_ashrrev_i32_e32 v1, 31, v0
	s_add_i32 s6, s7, s6
	s_mul_i32 s7, s15, s18
	v_mul_lo_u32 v4, s0, v1
	v_mul_lo_u32 v7, s1, v0
	v_mad_u64_u32 v[0:1], s[0:1], s0, v0, 0
	s_add_i32 s7, s6, s7
	s_mul_i32 s6, s14, s18
	s_lshl_b64 s[0:1], s[6:7], 2
	s_add_u32 s6, s8, s0
	s_addc_u32 s0, s9, s1
	v_add3_u32 v1, v1, v4, v7
	v_ashrrev_i32_e32 v4, 31, v3
	v_mov_b32_e32 v7, s0
	v_mul_lo_u32 v8, s2, v4
	v_mul_lo_u32 v9, s3, v3
	v_mad_u64_u32 v[3:4], s[0:1], s2, v3, 0
	v_lshlrev_b64 v[0:1], 2, v[0:1]
	v_add_co_u32_e32 v10, vcc, s6, v0
	v_add3_u32 v4, v4, v8, v9
	v_addc_co_u32_e32 v7, vcc, v7, v1, vcc
	v_lshlrev_b64 v[0:1], 2, v[3:4]
	v_add_co_u32_e32 v0, vcc, v10, v0
	v_addc_co_u32_e32 v1, vcc, v7, v1, vcc
	global_load_dword v4, v[0:1], off
	s_load_dwordx8 s[8:15], s[4:5], 0x70
	s_load_dwordx2 s[0:1], s[4:5], 0x48
	v_ashrrev_i32_e32 v0, 31, v2
	s_waitcnt lgkmcnt(0)
	s_mul_i32 s2, s8, s16
	s_mul_hi_u32 s3, s8, s19
	s_add_i32 s2, s3, s2
	s_mul_i32 s3, s9, s19
	s_add_i32 s3, s2, s3
	s_mul_i32 s2, s8, s19
	s_lshl_b64 s[2:3], s[2:3], 2
	s_add_u32 s4, s0, s2
	s_addc_u32 s5, s1, s3
	s_mul_i32 s0, s10, s17
	s_mul_hi_u32 s1, s10, s18
	s_add_i32 s0, s1, s0
	s_mul_i32 s1, s11, s18
	s_add_i32 s1, s0, s1
	s_mul_i32 s0, s10, s18
	v_mul_lo_u32 v3, s13, v2
	v_mul_lo_u32 v7, s12, v0
	v_mad_u64_u32 v[0:1], s[2:3], s12, v2, 0
	s_lshl_b64 s[0:1], s[0:1], 2
	s_add_u32 s2, s4, s0
	s_addc_u32 s0, s5, s1
	v_add3_u32 v1, v1, v7, v3
	v_mov_b32_e32 v7, s0
	v_mul_lo_u32 v8, s15, v5
	v_mul_lo_u32 v6, s14, v6
	v_mad_u64_u32 v[2:3], s[0:1], s14, v5, 0
	v_lshlrev_b64 v[0:1], 2, v[0:1]
	v_add_co_u32_e32 v5, vcc, s2, v0
	v_add3_u32 v3, v3, v6, v8
	v_addc_co_u32_e32 v7, vcc, v7, v1, vcc
	v_lshlrev_b64 v[0:1], 2, v[2:3]
	v_add_co_u32_e32 v0, vcc, v5, v0
	v_addc_co_u32_e32 v1, vcc, v7, v1, vcc
	s_waitcnt vmcnt(0)
	global_store_dword v[0:1], v4, off
.LBB31_6:
	s_endpgm
	.section	.rodata,"a",@progbits
	.p2align	6, 0x0
	.amdhsa_kernel _ZN2at6native12_GLOBAL__N_132replication_pad_forward_kernel2dIiEEvN5torch10headeronly6detail27GenericPackedTensorAccessorINS5_14TensorAccessorIN3c108ArrayRefIlEEKT_Lm3ENS4_16DefaultPtrTraitsElEENS_6detail16IndexBoundsCheckILm4ElEESC_Lm4ESD_lEENS6_INS7_ISA_SB_Lm3ESD_lEESH_SB_Lm4ESD_lEEiiii
		.amdhsa_group_segment_fixed_size 0
		.amdhsa_private_segment_fixed_size 0
		.amdhsa_kernarg_size 416
		.amdhsa_user_sgpr_count 6
		.amdhsa_user_sgpr_private_segment_buffer 1
		.amdhsa_user_sgpr_dispatch_ptr 0
		.amdhsa_user_sgpr_queue_ptr 0
		.amdhsa_user_sgpr_kernarg_segment_ptr 1
		.amdhsa_user_sgpr_dispatch_id 0
		.amdhsa_user_sgpr_flat_scratch_init 0
		.amdhsa_user_sgpr_private_segment_size 0
		.amdhsa_uses_dynamic_stack 0
		.amdhsa_system_sgpr_private_segment_wavefront_offset 0
		.amdhsa_system_sgpr_workgroup_id_x 1
		.amdhsa_system_sgpr_workgroup_id_y 1
		.amdhsa_system_sgpr_workgroup_id_z 1
		.amdhsa_system_sgpr_workgroup_info 0
		.amdhsa_system_vgpr_workitem_id 0
		.amdhsa_next_free_vgpr 13
		.amdhsa_next_free_sgpr 23
		.amdhsa_reserve_vcc 1
		.amdhsa_reserve_flat_scratch 0
		.amdhsa_float_round_mode_32 0
		.amdhsa_float_round_mode_16_64 0
		.amdhsa_float_denorm_mode_32 3
		.amdhsa_float_denorm_mode_16_64 3
		.amdhsa_dx10_clamp 1
		.amdhsa_ieee_mode 1
		.amdhsa_fp16_overflow 0
		.amdhsa_exception_fp_ieee_invalid_op 0
		.amdhsa_exception_fp_denorm_src 0
		.amdhsa_exception_fp_ieee_div_zero 0
		.amdhsa_exception_fp_ieee_overflow 0
		.amdhsa_exception_fp_ieee_underflow 0
		.amdhsa_exception_fp_ieee_inexact 0
		.amdhsa_exception_int_div_zero 0
	.end_amdhsa_kernel
	.section	.text._ZN2at6native12_GLOBAL__N_132replication_pad_forward_kernel2dIiEEvN5torch10headeronly6detail27GenericPackedTensorAccessorINS5_14TensorAccessorIN3c108ArrayRefIlEEKT_Lm3ENS4_16DefaultPtrTraitsElEENS_6detail16IndexBoundsCheckILm4ElEESC_Lm4ESD_lEENS6_INS7_ISA_SB_Lm3ESD_lEESH_SB_Lm4ESD_lEEiiii,"axG",@progbits,_ZN2at6native12_GLOBAL__N_132replication_pad_forward_kernel2dIiEEvN5torch10headeronly6detail27GenericPackedTensorAccessorINS5_14TensorAccessorIN3c108ArrayRefIlEEKT_Lm3ENS4_16DefaultPtrTraitsElEENS_6detail16IndexBoundsCheckILm4ElEESC_Lm4ESD_lEENS6_INS7_ISA_SB_Lm3ESD_lEESH_SB_Lm4ESD_lEEiiii,comdat
.Lfunc_end31:
	.size	_ZN2at6native12_GLOBAL__N_132replication_pad_forward_kernel2dIiEEvN5torch10headeronly6detail27GenericPackedTensorAccessorINS5_14TensorAccessorIN3c108ArrayRefIlEEKT_Lm3ENS4_16DefaultPtrTraitsElEENS_6detail16IndexBoundsCheckILm4ElEESC_Lm4ESD_lEENS6_INS7_ISA_SB_Lm3ESD_lEESH_SB_Lm4ESD_lEEiiii, .Lfunc_end31-_ZN2at6native12_GLOBAL__N_132replication_pad_forward_kernel2dIiEEvN5torch10headeronly6detail27GenericPackedTensorAccessorINS5_14TensorAccessorIN3c108ArrayRefIlEEKT_Lm3ENS4_16DefaultPtrTraitsElEENS_6detail16IndexBoundsCheckILm4ElEESC_Lm4ESD_lEENS6_INS7_ISA_SB_Lm3ESD_lEESH_SB_Lm4ESD_lEEiiii
                                        ; -- End function
	.set _ZN2at6native12_GLOBAL__N_132replication_pad_forward_kernel2dIiEEvN5torch10headeronly6detail27GenericPackedTensorAccessorINS5_14TensorAccessorIN3c108ArrayRefIlEEKT_Lm3ENS4_16DefaultPtrTraitsElEENS_6detail16IndexBoundsCheckILm4ElEESC_Lm4ESD_lEENS6_INS7_ISA_SB_Lm3ESD_lEESH_SB_Lm4ESD_lEEiiii.num_vgpr, 13
	.set _ZN2at6native12_GLOBAL__N_132replication_pad_forward_kernel2dIiEEvN5torch10headeronly6detail27GenericPackedTensorAccessorINS5_14TensorAccessorIN3c108ArrayRefIlEEKT_Lm3ENS4_16DefaultPtrTraitsElEENS_6detail16IndexBoundsCheckILm4ElEESC_Lm4ESD_lEENS6_INS7_ISA_SB_Lm3ESD_lEESH_SB_Lm4ESD_lEEiiii.num_agpr, 0
	.set _ZN2at6native12_GLOBAL__N_132replication_pad_forward_kernel2dIiEEvN5torch10headeronly6detail27GenericPackedTensorAccessorINS5_14TensorAccessorIN3c108ArrayRefIlEEKT_Lm3ENS4_16DefaultPtrTraitsElEENS_6detail16IndexBoundsCheckILm4ElEESC_Lm4ESD_lEENS6_INS7_ISA_SB_Lm3ESD_lEESH_SB_Lm4ESD_lEEiiii.numbered_sgpr, 23
	.set _ZN2at6native12_GLOBAL__N_132replication_pad_forward_kernel2dIiEEvN5torch10headeronly6detail27GenericPackedTensorAccessorINS5_14TensorAccessorIN3c108ArrayRefIlEEKT_Lm3ENS4_16DefaultPtrTraitsElEENS_6detail16IndexBoundsCheckILm4ElEESC_Lm4ESD_lEENS6_INS7_ISA_SB_Lm3ESD_lEESH_SB_Lm4ESD_lEEiiii.num_named_barrier, 0
	.set _ZN2at6native12_GLOBAL__N_132replication_pad_forward_kernel2dIiEEvN5torch10headeronly6detail27GenericPackedTensorAccessorINS5_14TensorAccessorIN3c108ArrayRefIlEEKT_Lm3ENS4_16DefaultPtrTraitsElEENS_6detail16IndexBoundsCheckILm4ElEESC_Lm4ESD_lEENS6_INS7_ISA_SB_Lm3ESD_lEESH_SB_Lm4ESD_lEEiiii.private_seg_size, 0
	.set _ZN2at6native12_GLOBAL__N_132replication_pad_forward_kernel2dIiEEvN5torch10headeronly6detail27GenericPackedTensorAccessorINS5_14TensorAccessorIN3c108ArrayRefIlEEKT_Lm3ENS4_16DefaultPtrTraitsElEENS_6detail16IndexBoundsCheckILm4ElEESC_Lm4ESD_lEENS6_INS7_ISA_SB_Lm3ESD_lEESH_SB_Lm4ESD_lEEiiii.uses_vcc, 1
	.set _ZN2at6native12_GLOBAL__N_132replication_pad_forward_kernel2dIiEEvN5torch10headeronly6detail27GenericPackedTensorAccessorINS5_14TensorAccessorIN3c108ArrayRefIlEEKT_Lm3ENS4_16DefaultPtrTraitsElEENS_6detail16IndexBoundsCheckILm4ElEESC_Lm4ESD_lEENS6_INS7_ISA_SB_Lm3ESD_lEESH_SB_Lm4ESD_lEEiiii.uses_flat_scratch, 0
	.set _ZN2at6native12_GLOBAL__N_132replication_pad_forward_kernel2dIiEEvN5torch10headeronly6detail27GenericPackedTensorAccessorINS5_14TensorAccessorIN3c108ArrayRefIlEEKT_Lm3ENS4_16DefaultPtrTraitsElEENS_6detail16IndexBoundsCheckILm4ElEESC_Lm4ESD_lEENS6_INS7_ISA_SB_Lm3ESD_lEESH_SB_Lm4ESD_lEEiiii.has_dyn_sized_stack, 0
	.set _ZN2at6native12_GLOBAL__N_132replication_pad_forward_kernel2dIiEEvN5torch10headeronly6detail27GenericPackedTensorAccessorINS5_14TensorAccessorIN3c108ArrayRefIlEEKT_Lm3ENS4_16DefaultPtrTraitsElEENS_6detail16IndexBoundsCheckILm4ElEESC_Lm4ESD_lEENS6_INS7_ISA_SB_Lm3ESD_lEESH_SB_Lm4ESD_lEEiiii.has_recursion, 0
	.set _ZN2at6native12_GLOBAL__N_132replication_pad_forward_kernel2dIiEEvN5torch10headeronly6detail27GenericPackedTensorAccessorINS5_14TensorAccessorIN3c108ArrayRefIlEEKT_Lm3ENS4_16DefaultPtrTraitsElEENS_6detail16IndexBoundsCheckILm4ElEESC_Lm4ESD_lEENS6_INS7_ISA_SB_Lm3ESD_lEESH_SB_Lm4ESD_lEEiiii.has_indirect_call, 0
	.section	.AMDGPU.csdata,"",@progbits
; Kernel info:
; codeLenInByte = 1396
; TotalNumSgprs: 27
; NumVgprs: 13
; ScratchSize: 0
; MemoryBound: 0
; FloatMode: 240
; IeeeMode: 1
; LDSByteSize: 0 bytes/workgroup (compile time only)
; SGPRBlocks: 3
; VGPRBlocks: 3
; NumSGPRsForWavesPerEU: 27
; NumVGPRsForWavesPerEU: 13
; Occupancy: 10
; WaveLimiterHint : 1
; COMPUTE_PGM_RSRC2:SCRATCH_EN: 0
; COMPUTE_PGM_RSRC2:USER_SGPR: 6
; COMPUTE_PGM_RSRC2:TRAP_HANDLER: 0
; COMPUTE_PGM_RSRC2:TGID_X_EN: 1
; COMPUTE_PGM_RSRC2:TGID_Y_EN: 1
; COMPUTE_PGM_RSRC2:TGID_Z_EN: 1
; COMPUTE_PGM_RSRC2:TIDIG_COMP_CNT: 0
	.section	.text._ZN2at6native12_GLOBAL__N_132replication_pad_forward_kernel2dIlEEvN5torch10headeronly6detail27GenericPackedTensorAccessorINS5_14TensorAccessorIN3c108ArrayRefIlEEKT_Lm3ENS4_16DefaultPtrTraitsElEENS_6detail16IndexBoundsCheckILm4ElEESC_Lm4ESD_lEENS6_INS7_ISA_SB_Lm3ESD_lEESH_SB_Lm4ESD_lEEiiii,"axG",@progbits,_ZN2at6native12_GLOBAL__N_132replication_pad_forward_kernel2dIlEEvN5torch10headeronly6detail27GenericPackedTensorAccessorINS5_14TensorAccessorIN3c108ArrayRefIlEEKT_Lm3ENS4_16DefaultPtrTraitsElEENS_6detail16IndexBoundsCheckILm4ElEESC_Lm4ESD_lEENS6_INS7_ISA_SB_Lm3ESD_lEESH_SB_Lm4ESD_lEEiiii,comdat
	.globl	_ZN2at6native12_GLOBAL__N_132replication_pad_forward_kernel2dIlEEvN5torch10headeronly6detail27GenericPackedTensorAccessorINS5_14TensorAccessorIN3c108ArrayRefIlEEKT_Lm3ENS4_16DefaultPtrTraitsElEENS_6detail16IndexBoundsCheckILm4ElEESC_Lm4ESD_lEENS6_INS7_ISA_SB_Lm3ESD_lEESH_SB_Lm4ESD_lEEiiii ; -- Begin function _ZN2at6native12_GLOBAL__N_132replication_pad_forward_kernel2dIlEEvN5torch10headeronly6detail27GenericPackedTensorAccessorINS5_14TensorAccessorIN3c108ArrayRefIlEEKT_Lm3ENS4_16DefaultPtrTraitsElEENS_6detail16IndexBoundsCheckILm4ElEESC_Lm4ESD_lEENS6_INS7_ISA_SB_Lm3ESD_lEESH_SB_Lm4ESD_lEEiiii
	.p2align	8
	.type	_ZN2at6native12_GLOBAL__N_132replication_pad_forward_kernel2dIlEEvN5torch10headeronly6detail27GenericPackedTensorAccessorINS5_14TensorAccessorIN3c108ArrayRefIlEEKT_Lm3ENS4_16DefaultPtrTraitsElEENS_6detail16IndexBoundsCheckILm4ElEESC_Lm4ESD_lEENS6_INS7_ISA_SB_Lm3ESD_lEESH_SB_Lm4ESD_lEEiiii,@function
_ZN2at6native12_GLOBAL__N_132replication_pad_forward_kernel2dIlEEvN5torch10headeronly6detail27GenericPackedTensorAccessorINS5_14TensorAccessorIN3c108ArrayRefIlEEKT_Lm3ENS4_16DefaultPtrTraitsElEENS_6detail16IndexBoundsCheckILm4ElEESC_Lm4ESD_lEENS6_INS7_ISA_SB_Lm3ESD_lEESH_SB_Lm4ESD_lEEiiii: ; @_ZN2at6native12_GLOBAL__N_132replication_pad_forward_kernel2dIlEEvN5torch10headeronly6detail27GenericPackedTensorAccessorINS5_14TensorAccessorIN3c108ArrayRefIlEEKT_Lm3ENS4_16DefaultPtrTraitsElEENS_6detail16IndexBoundsCheckILm4ElEESC_Lm4ESD_lEENS6_INS7_ISA_SB_Lm3ESD_lEESH_SB_Lm4ESD_lEEiiii
; %bb.0:
	s_load_dword s9, s[4:5], 0xac
	s_load_dwordx4 s[0:3], s[4:5], 0x60
	s_waitcnt lgkmcnt(0)
	s_and_b32 s9, s9, 0xffff
	s_mul_i32 s6, s6, s9
	v_add_u32_e32 v0, s6, v0
	s_mul_i32 s1, s2, s1
	s_mul_hi_u32 s6, s2, s0
	s_add_i32 s1, s6, s1
	s_mul_i32 s6, s3, s0
	v_ashrrev_i32_e32 v1, 31, v0
	s_add_i32 s1, s1, s6
	s_mul_i32 s0, s2, s0
	v_cmp_gt_i64_e32 vcc, s[0:1], v[0:1]
	s_and_saveexec_b64 s[0:1], vcc
	s_cbranch_execz .LBB32_6
; %bb.1:
	v_or_b32_e32 v3, s3, v1
	v_mov_b32_e32 v2, 0
	v_cmp_ne_u64_e32 vcc, 0, v[2:3]
                                        ; implicit-def: $vgpr2_vgpr3
	s_and_saveexec_b64 s[0:1], vcc
	s_xor_b64 s[10:11], exec, s[0:1]
	s_cbranch_execz .LBB32_3
; %bb.2:
	s_ashr_i32 s12, s3, 31
	s_add_u32 s0, s2, s12
	s_mov_b32 s13, s12
	s_addc_u32 s1, s3, s12
	s_xor_b64 s[14:15], s[0:1], s[12:13]
	v_cvt_f32_u32_e32 v2, s14
	v_cvt_f32_u32_e32 v3, s15
	s_sub_u32 s6, 0, s14
	s_subb_u32 s9, 0, s15
	v_ashrrev_i32_e32 v6, 31, v1
	v_madmk_f32 v2, v3, 0x4f800000, v2
	v_rcp_f32_e32 v2, v2
	v_mul_f32_e32 v2, 0x5f7ffffc, v2
	v_mul_f32_e32 v3, 0x2f800000, v2
	v_trunc_f32_e32 v3, v3
	v_madmk_f32 v2, v3, 0xcf800000, v2
	v_cvt_u32_f32_e32 v3, v3
	v_cvt_u32_f32_e32 v2, v2
	v_readfirstlane_b32 s13, v3
	v_readfirstlane_b32 s0, v2
	s_mul_i32 s1, s6, s13
	s_mul_hi_u32 s17, s6, s0
	s_mul_i32 s16, s9, s0
	s_add_i32 s1, s17, s1
	s_add_i32 s1, s1, s16
	s_mul_i32 s18, s6, s0
	s_mul_i32 s17, s0, s1
	s_mul_hi_u32 s19, s0, s18
	s_mul_hi_u32 s16, s0, s1
	s_add_u32 s17, s19, s17
	s_addc_u32 s16, 0, s16
	s_mul_hi_u32 s20, s13, s18
	s_mul_i32 s18, s13, s18
	s_add_u32 s17, s17, s18
	s_mul_hi_u32 s19, s13, s1
	s_addc_u32 s16, s16, s20
	s_addc_u32 s17, s19, 0
	s_mul_i32 s1, s13, s1
	s_add_u32 s1, s16, s1
	s_addc_u32 s16, 0, s17
	s_add_u32 s17, s0, s1
	s_cselect_b64 s[0:1], -1, 0
	s_cmp_lg_u64 s[0:1], 0
	s_addc_u32 s13, s13, s16
	s_mul_i32 s0, s6, s13
	s_mul_hi_u32 s1, s6, s17
	s_add_i32 s0, s1, s0
	s_mul_i32 s9, s9, s17
	s_add_i32 s0, s0, s9
	s_mul_i32 s6, s6, s17
	s_mul_hi_u32 s9, s13, s6
	s_mul_i32 s16, s13, s6
	s_mul_i32 s19, s17, s0
	s_mul_hi_u32 s6, s17, s6
	s_mul_hi_u32 s18, s17, s0
	s_add_u32 s6, s6, s19
	s_addc_u32 s18, 0, s18
	s_add_u32 s6, s6, s16
	s_mul_hi_u32 s1, s13, s0
	s_addc_u32 s6, s18, s9
	s_addc_u32 s1, s1, 0
	s_mul_i32 s0, s13, s0
	s_add_u32 s0, s6, s0
	s_addc_u32 s6, 0, s1
	s_add_u32 s9, s17, s0
	s_cselect_b64 s[0:1], -1, 0
	s_cmp_lg_u64 s[0:1], 0
	v_add_co_u32_e32 v2, vcc, v0, v6
	s_addc_u32 s6, s13, s6
	v_xor_b32_e32 v7, v2, v6
	v_mad_u64_u32 v[2:3], s[0:1], v7, s6, 0
	v_mul_hi_u32 v5, v7, s9
	v_addc_co_u32_e32 v4, vcc, v1, v6, vcc
	v_xor_b32_e32 v8, v4, v6
	v_add_co_u32_e32 v9, vcc, v5, v2
	v_addc_co_u32_e32 v10, vcc, 0, v3, vcc
	v_mad_u64_u32 v[2:3], s[0:1], v8, s9, 0
	v_mad_u64_u32 v[4:5], s[0:1], v8, s6, 0
	v_add_co_u32_e32 v2, vcc, v9, v2
	v_addc_co_u32_e32 v2, vcc, v10, v3, vcc
	v_addc_co_u32_e32 v3, vcc, 0, v5, vcc
	v_add_co_u32_e32 v4, vcc, v2, v4
	v_addc_co_u32_e32 v5, vcc, 0, v3, vcc
	v_mul_lo_u32 v9, s15, v4
	v_mul_lo_u32 v10, s14, v5
	v_mad_u64_u32 v[2:3], s[0:1], s14, v4, 0
	v_add3_u32 v3, v3, v10, v9
	v_sub_u32_e32 v9, v8, v3
	v_mov_b32_e32 v10, s15
	v_sub_co_u32_e32 v2, vcc, v7, v2
	v_subb_co_u32_e64 v7, s[0:1], v9, v10, vcc
	v_subrev_co_u32_e64 v9, s[0:1], s14, v2
	v_subbrev_co_u32_e64 v7, s[0:1], 0, v7, s[0:1]
	v_cmp_le_u32_e64 s[0:1], s15, v7
	v_cndmask_b32_e64 v10, 0, -1, s[0:1]
	v_cmp_le_u32_e64 s[0:1], s14, v9
	v_cndmask_b32_e64 v9, 0, -1, s[0:1]
	v_cmp_eq_u32_e64 s[0:1], s15, v7
	v_cndmask_b32_e64 v7, v10, v9, s[0:1]
	v_add_co_u32_e64 v9, s[0:1], 2, v4
	v_subb_co_u32_e32 v3, vcc, v8, v3, vcc
	v_addc_co_u32_e64 v10, s[0:1], 0, v5, s[0:1]
	v_cmp_le_u32_e32 vcc, s15, v3
	v_add_co_u32_e64 v11, s[0:1], 1, v4
	v_cndmask_b32_e64 v8, 0, -1, vcc
	v_cmp_le_u32_e32 vcc, s14, v2
	v_addc_co_u32_e64 v12, s[0:1], 0, v5, s[0:1]
	v_cndmask_b32_e64 v2, 0, -1, vcc
	v_cmp_eq_u32_e32 vcc, s15, v3
	v_cmp_ne_u32_e64 s[0:1], 0, v7
	v_cndmask_b32_e32 v2, v8, v2, vcc
	v_cndmask_b32_e64 v7, v12, v10, s[0:1]
	v_cmp_ne_u32_e32 vcc, 0, v2
	v_cndmask_b32_e64 v3, v11, v9, s[0:1]
	v_cndmask_b32_e32 v2, v5, v7, vcc
	v_cndmask_b32_e32 v3, v4, v3, vcc
	v_xor_b32_e32 v4, s12, v6
	v_xor_b32_e32 v5, v2, v4
	;; [unrolled: 1-line block ×3, first 2 shown]
	v_sub_co_u32_e32 v2, vcc, v2, v4
	v_subb_co_u32_e32 v3, vcc, v5, v4, vcc
.LBB32_3:
	s_andn2_saveexec_b64 s[0:1], s[10:11]
	s_cbranch_execz .LBB32_5
; %bb.4:
	v_cvt_f32_u32_e32 v2, s2
	s_sub_i32 s6, 0, s2
	v_rcp_iflag_f32_e32 v2, v2
	v_mul_f32_e32 v2, 0x4f7ffffe, v2
	v_cvt_u32_f32_e32 v2, v2
	v_mul_lo_u32 v3, s6, v2
	v_mul_hi_u32 v3, v2, v3
	v_add_u32_e32 v2, v2, v3
	v_mul_hi_u32 v2, v0, v2
	v_mul_lo_u32 v3, v2, s2
	v_add_u32_e32 v4, 1, v2
	v_sub_u32_e32 v3, v0, v3
	v_subrev_u32_e32 v5, s2, v3
	v_cmp_le_u32_e32 vcc, s2, v3
	v_cndmask_b32_e32 v3, v3, v5, vcc
	v_cndmask_b32_e32 v2, v2, v4, vcc
	v_add_u32_e32 v4, 1, v2
	v_cmp_le_u32_e32 vcc, s2, v3
	v_cndmask_b32_e32 v2, v2, v4, vcc
	v_mov_b32_e32 v3, 0
.LBB32_5:
	s_or_b64 exec, exec, s[0:1]
	s_load_dwordx4 s[16:19], s[4:5], 0x90
	v_mul_lo_u32 v5, v3, s2
	v_mul_lo_u32 v6, v2, s3
	v_mad_u64_u32 v[3:4], s[0:1], v2, s2, 0
	s_waitcnt lgkmcnt(0)
	s_add_i32 s19, s19, s8
	s_load_dwordx8 s[8:15], s[4:5], 0x18
	v_add3_u32 v4, v4, v6, v5
	v_sub_co_u32_e32 v5, vcc, v0, v3
	s_sub_i32 s0, 0, s17
	s_waitcnt lgkmcnt(0)
	s_add_i32 s10, s17, s10
	s_max_i32 s20, s0, 0
	s_max_i32 s22, s17, 0
	v_max_i32_e32 v0, s17, v5
	s_add_i32 s10, s10, -1
	s_sub_i32 s0, 0, s16
	v_min_i32_e32 v0, s10, v0
	s_sub_i32 s10, s20, s22
	s_add_i32 s8, s16, s8
	s_max_i32 s21, s0, 0
	s_max_i32 s9, s16, 0
	v_add_u32_e32 v3, s10, v0
	v_max_i32_e32 v0, s16, v2
	s_add_i32 s8, s8, -1
	v_min_i32_e32 v0, s8, v0
	s_sub_i32 s8, s21, s9
	s_ashr_i32 s16, s19, 31
	s_add_i32 s18, s18, s7
	s_load_dwordx2 s[6:7], s[4:5], 0x0
	s_load_dwordx4 s[0:3], s[4:5], 0x38
	v_add_u32_e32 v0, s8, v0
	s_mul_i32 s8, s12, s16
	s_mul_hi_u32 s9, s12, s19
	s_add_i32 s8, s9, s8
	s_mul_i32 s9, s13, s19
	s_add_i32 s9, s8, s9
	s_mul_i32 s8, s12, s19
	s_lshl_b64 s[8:9], s[8:9], 3
	s_waitcnt lgkmcnt(0)
	s_add_u32 s8, s6, s8
	s_addc_u32 s9, s7, s9
	s_ashr_i32 s17, s18, 31
	v_subb_co_u32_e32 v6, vcc, v1, v4, vcc
	s_mul_i32 s6, s14, s17
	s_mul_hi_u32 s7, s14, s18
	v_ashrrev_i32_e32 v1, 31, v0
	s_add_i32 s6, s7, s6
	s_mul_i32 s7, s15, s18
	v_mul_lo_u32 v4, s0, v1
	v_mul_lo_u32 v7, s1, v0
	v_mad_u64_u32 v[0:1], s[0:1], s0, v0, 0
	s_add_i32 s7, s6, s7
	s_mul_i32 s6, s14, s18
	s_lshl_b64 s[0:1], s[6:7], 3
	s_add_u32 s6, s8, s0
	s_addc_u32 s0, s9, s1
	v_add3_u32 v1, v1, v4, v7
	v_ashrrev_i32_e32 v4, 31, v3
	v_mov_b32_e32 v7, s0
	v_mul_lo_u32 v8, s2, v4
	v_mul_lo_u32 v9, s3, v3
	v_mad_u64_u32 v[3:4], s[0:1], s2, v3, 0
	v_lshlrev_b64 v[0:1], 3, v[0:1]
	v_add_co_u32_e32 v10, vcc, s6, v0
	v_add3_u32 v4, v4, v8, v9
	v_addc_co_u32_e32 v7, vcc, v7, v1, vcc
	v_lshlrev_b64 v[0:1], 3, v[3:4]
	v_ashrrev_i32_e32 v3, 31, v2
	v_add_co_u32_e32 v0, vcc, v10, v0
	v_addc_co_u32_e32 v1, vcc, v7, v1, vcc
	global_load_dwordx2 v[0:1], v[0:1], off
	s_load_dwordx8 s[8:15], s[4:5], 0x70
	s_load_dwordx2 s[0:1], s[4:5], 0x48
	s_waitcnt lgkmcnt(0)
	s_mul_i32 s2, s8, s16
	s_mul_hi_u32 s3, s8, s19
	s_add_i32 s2, s3, s2
	s_mul_i32 s3, s9, s19
	s_add_i32 s3, s2, s3
	s_mul_i32 s2, s8, s19
	s_lshl_b64 s[2:3], s[2:3], 3
	s_add_u32 s4, s0, s2
	s_addc_u32 s5, s1, s3
	s_mul_i32 s0, s10, s17
	s_mul_hi_u32 s1, s10, s18
	s_add_i32 s0, s1, s0
	s_mul_i32 s1, s11, s18
	s_add_i32 s1, s0, s1
	s_mul_i32 s0, s10, s18
	v_mul_lo_u32 v4, s13, v2
	v_mul_lo_u32 v7, s12, v3
	v_mad_u64_u32 v[2:3], s[2:3], s12, v2, 0
	s_lshl_b64 s[0:1], s[0:1], 3
	s_add_u32 s2, s4, s0
	s_addc_u32 s0, s5, s1
	v_add3_u32 v3, v3, v7, v4
	v_mov_b32_e32 v7, s0
	v_mul_lo_u32 v8, s15, v5
	v_mul_lo_u32 v6, s14, v6
	v_mad_u64_u32 v[4:5], s[0:1], s14, v5, 0
	v_lshlrev_b64 v[2:3], 3, v[2:3]
	v_add_co_u32_e32 v9, vcc, s2, v2
	v_add3_u32 v5, v5, v6, v8
	v_addc_co_u32_e32 v7, vcc, v7, v3, vcc
	v_lshlrev_b64 v[2:3], 3, v[4:5]
	v_add_co_u32_e32 v2, vcc, v9, v2
	v_addc_co_u32_e32 v3, vcc, v7, v3, vcc
	s_waitcnt vmcnt(0)
	global_store_dwordx2 v[2:3], v[0:1], off
.LBB32_6:
	s_endpgm
	.section	.rodata,"a",@progbits
	.p2align	6, 0x0
	.amdhsa_kernel _ZN2at6native12_GLOBAL__N_132replication_pad_forward_kernel2dIlEEvN5torch10headeronly6detail27GenericPackedTensorAccessorINS5_14TensorAccessorIN3c108ArrayRefIlEEKT_Lm3ENS4_16DefaultPtrTraitsElEENS_6detail16IndexBoundsCheckILm4ElEESC_Lm4ESD_lEENS6_INS7_ISA_SB_Lm3ESD_lEESH_SB_Lm4ESD_lEEiiii
		.amdhsa_group_segment_fixed_size 0
		.amdhsa_private_segment_fixed_size 0
		.amdhsa_kernarg_size 416
		.amdhsa_user_sgpr_count 6
		.amdhsa_user_sgpr_private_segment_buffer 1
		.amdhsa_user_sgpr_dispatch_ptr 0
		.amdhsa_user_sgpr_queue_ptr 0
		.amdhsa_user_sgpr_kernarg_segment_ptr 1
		.amdhsa_user_sgpr_dispatch_id 0
		.amdhsa_user_sgpr_flat_scratch_init 0
		.amdhsa_user_sgpr_private_segment_size 0
		.amdhsa_uses_dynamic_stack 0
		.amdhsa_system_sgpr_private_segment_wavefront_offset 0
		.amdhsa_system_sgpr_workgroup_id_x 1
		.amdhsa_system_sgpr_workgroup_id_y 1
		.amdhsa_system_sgpr_workgroup_id_z 1
		.amdhsa_system_sgpr_workgroup_info 0
		.amdhsa_system_vgpr_workitem_id 0
		.amdhsa_next_free_vgpr 13
		.amdhsa_next_free_sgpr 23
		.amdhsa_reserve_vcc 1
		.amdhsa_reserve_flat_scratch 0
		.amdhsa_float_round_mode_32 0
		.amdhsa_float_round_mode_16_64 0
		.amdhsa_float_denorm_mode_32 3
		.amdhsa_float_denorm_mode_16_64 3
		.amdhsa_dx10_clamp 1
		.amdhsa_ieee_mode 1
		.amdhsa_fp16_overflow 0
		.amdhsa_exception_fp_ieee_invalid_op 0
		.amdhsa_exception_fp_denorm_src 0
		.amdhsa_exception_fp_ieee_div_zero 0
		.amdhsa_exception_fp_ieee_overflow 0
		.amdhsa_exception_fp_ieee_underflow 0
		.amdhsa_exception_fp_ieee_inexact 0
		.amdhsa_exception_int_div_zero 0
	.end_amdhsa_kernel
	.section	.text._ZN2at6native12_GLOBAL__N_132replication_pad_forward_kernel2dIlEEvN5torch10headeronly6detail27GenericPackedTensorAccessorINS5_14TensorAccessorIN3c108ArrayRefIlEEKT_Lm3ENS4_16DefaultPtrTraitsElEENS_6detail16IndexBoundsCheckILm4ElEESC_Lm4ESD_lEENS6_INS7_ISA_SB_Lm3ESD_lEESH_SB_Lm4ESD_lEEiiii,"axG",@progbits,_ZN2at6native12_GLOBAL__N_132replication_pad_forward_kernel2dIlEEvN5torch10headeronly6detail27GenericPackedTensorAccessorINS5_14TensorAccessorIN3c108ArrayRefIlEEKT_Lm3ENS4_16DefaultPtrTraitsElEENS_6detail16IndexBoundsCheckILm4ElEESC_Lm4ESD_lEENS6_INS7_ISA_SB_Lm3ESD_lEESH_SB_Lm4ESD_lEEiiii,comdat
.Lfunc_end32:
	.size	_ZN2at6native12_GLOBAL__N_132replication_pad_forward_kernel2dIlEEvN5torch10headeronly6detail27GenericPackedTensorAccessorINS5_14TensorAccessorIN3c108ArrayRefIlEEKT_Lm3ENS4_16DefaultPtrTraitsElEENS_6detail16IndexBoundsCheckILm4ElEESC_Lm4ESD_lEENS6_INS7_ISA_SB_Lm3ESD_lEESH_SB_Lm4ESD_lEEiiii, .Lfunc_end32-_ZN2at6native12_GLOBAL__N_132replication_pad_forward_kernel2dIlEEvN5torch10headeronly6detail27GenericPackedTensorAccessorINS5_14TensorAccessorIN3c108ArrayRefIlEEKT_Lm3ENS4_16DefaultPtrTraitsElEENS_6detail16IndexBoundsCheckILm4ElEESC_Lm4ESD_lEENS6_INS7_ISA_SB_Lm3ESD_lEESH_SB_Lm4ESD_lEEiiii
                                        ; -- End function
	.set _ZN2at6native12_GLOBAL__N_132replication_pad_forward_kernel2dIlEEvN5torch10headeronly6detail27GenericPackedTensorAccessorINS5_14TensorAccessorIN3c108ArrayRefIlEEKT_Lm3ENS4_16DefaultPtrTraitsElEENS_6detail16IndexBoundsCheckILm4ElEESC_Lm4ESD_lEENS6_INS7_ISA_SB_Lm3ESD_lEESH_SB_Lm4ESD_lEEiiii.num_vgpr, 13
	.set _ZN2at6native12_GLOBAL__N_132replication_pad_forward_kernel2dIlEEvN5torch10headeronly6detail27GenericPackedTensorAccessorINS5_14TensorAccessorIN3c108ArrayRefIlEEKT_Lm3ENS4_16DefaultPtrTraitsElEENS_6detail16IndexBoundsCheckILm4ElEESC_Lm4ESD_lEENS6_INS7_ISA_SB_Lm3ESD_lEESH_SB_Lm4ESD_lEEiiii.num_agpr, 0
	.set _ZN2at6native12_GLOBAL__N_132replication_pad_forward_kernel2dIlEEvN5torch10headeronly6detail27GenericPackedTensorAccessorINS5_14TensorAccessorIN3c108ArrayRefIlEEKT_Lm3ENS4_16DefaultPtrTraitsElEENS_6detail16IndexBoundsCheckILm4ElEESC_Lm4ESD_lEENS6_INS7_ISA_SB_Lm3ESD_lEESH_SB_Lm4ESD_lEEiiii.numbered_sgpr, 23
	.set _ZN2at6native12_GLOBAL__N_132replication_pad_forward_kernel2dIlEEvN5torch10headeronly6detail27GenericPackedTensorAccessorINS5_14TensorAccessorIN3c108ArrayRefIlEEKT_Lm3ENS4_16DefaultPtrTraitsElEENS_6detail16IndexBoundsCheckILm4ElEESC_Lm4ESD_lEENS6_INS7_ISA_SB_Lm3ESD_lEESH_SB_Lm4ESD_lEEiiii.num_named_barrier, 0
	.set _ZN2at6native12_GLOBAL__N_132replication_pad_forward_kernel2dIlEEvN5torch10headeronly6detail27GenericPackedTensorAccessorINS5_14TensorAccessorIN3c108ArrayRefIlEEKT_Lm3ENS4_16DefaultPtrTraitsElEENS_6detail16IndexBoundsCheckILm4ElEESC_Lm4ESD_lEENS6_INS7_ISA_SB_Lm3ESD_lEESH_SB_Lm4ESD_lEEiiii.private_seg_size, 0
	.set _ZN2at6native12_GLOBAL__N_132replication_pad_forward_kernel2dIlEEvN5torch10headeronly6detail27GenericPackedTensorAccessorINS5_14TensorAccessorIN3c108ArrayRefIlEEKT_Lm3ENS4_16DefaultPtrTraitsElEENS_6detail16IndexBoundsCheckILm4ElEESC_Lm4ESD_lEENS6_INS7_ISA_SB_Lm3ESD_lEESH_SB_Lm4ESD_lEEiiii.uses_vcc, 1
	.set _ZN2at6native12_GLOBAL__N_132replication_pad_forward_kernel2dIlEEvN5torch10headeronly6detail27GenericPackedTensorAccessorINS5_14TensorAccessorIN3c108ArrayRefIlEEKT_Lm3ENS4_16DefaultPtrTraitsElEENS_6detail16IndexBoundsCheckILm4ElEESC_Lm4ESD_lEENS6_INS7_ISA_SB_Lm3ESD_lEESH_SB_Lm4ESD_lEEiiii.uses_flat_scratch, 0
	.set _ZN2at6native12_GLOBAL__N_132replication_pad_forward_kernel2dIlEEvN5torch10headeronly6detail27GenericPackedTensorAccessorINS5_14TensorAccessorIN3c108ArrayRefIlEEKT_Lm3ENS4_16DefaultPtrTraitsElEENS_6detail16IndexBoundsCheckILm4ElEESC_Lm4ESD_lEENS6_INS7_ISA_SB_Lm3ESD_lEESH_SB_Lm4ESD_lEEiiii.has_dyn_sized_stack, 0
	.set _ZN2at6native12_GLOBAL__N_132replication_pad_forward_kernel2dIlEEvN5torch10headeronly6detail27GenericPackedTensorAccessorINS5_14TensorAccessorIN3c108ArrayRefIlEEKT_Lm3ENS4_16DefaultPtrTraitsElEENS_6detail16IndexBoundsCheckILm4ElEESC_Lm4ESD_lEENS6_INS7_ISA_SB_Lm3ESD_lEESH_SB_Lm4ESD_lEEiiii.has_recursion, 0
	.set _ZN2at6native12_GLOBAL__N_132replication_pad_forward_kernel2dIlEEvN5torch10headeronly6detail27GenericPackedTensorAccessorINS5_14TensorAccessorIN3c108ArrayRefIlEEKT_Lm3ENS4_16DefaultPtrTraitsElEENS_6detail16IndexBoundsCheckILm4ElEESC_Lm4ESD_lEENS6_INS7_ISA_SB_Lm3ESD_lEESH_SB_Lm4ESD_lEEiiii.has_indirect_call, 0
	.section	.AMDGPU.csdata,"",@progbits
; Kernel info:
; codeLenInByte = 1396
; TotalNumSgprs: 27
; NumVgprs: 13
; ScratchSize: 0
; MemoryBound: 0
; FloatMode: 240
; IeeeMode: 1
; LDSByteSize: 0 bytes/workgroup (compile time only)
; SGPRBlocks: 3
; VGPRBlocks: 3
; NumSGPRsForWavesPerEU: 27
; NumVGPRsForWavesPerEU: 13
; Occupancy: 10
; WaveLimiterHint : 1
; COMPUTE_PGM_RSRC2:SCRATCH_EN: 0
; COMPUTE_PGM_RSRC2:USER_SGPR: 6
; COMPUTE_PGM_RSRC2:TRAP_HANDLER: 0
; COMPUTE_PGM_RSRC2:TGID_X_EN: 1
; COMPUTE_PGM_RSRC2:TGID_Y_EN: 1
; COMPUTE_PGM_RSRC2:TGID_Z_EN: 1
; COMPUTE_PGM_RSRC2:TIDIG_COMP_CNT: 0
	.section	.text._ZN2at6native12_GLOBAL__N_132replication_pad_forward_kernel2dIsEEvN5torch10headeronly6detail27GenericPackedTensorAccessorINS5_14TensorAccessorIN3c108ArrayRefIlEEKT_Lm3ENS4_16DefaultPtrTraitsElEENS_6detail16IndexBoundsCheckILm4ElEESC_Lm4ESD_lEENS6_INS7_ISA_SB_Lm3ESD_lEESH_SB_Lm4ESD_lEEiiii,"axG",@progbits,_ZN2at6native12_GLOBAL__N_132replication_pad_forward_kernel2dIsEEvN5torch10headeronly6detail27GenericPackedTensorAccessorINS5_14TensorAccessorIN3c108ArrayRefIlEEKT_Lm3ENS4_16DefaultPtrTraitsElEENS_6detail16IndexBoundsCheckILm4ElEESC_Lm4ESD_lEENS6_INS7_ISA_SB_Lm3ESD_lEESH_SB_Lm4ESD_lEEiiii,comdat
	.globl	_ZN2at6native12_GLOBAL__N_132replication_pad_forward_kernel2dIsEEvN5torch10headeronly6detail27GenericPackedTensorAccessorINS5_14TensorAccessorIN3c108ArrayRefIlEEKT_Lm3ENS4_16DefaultPtrTraitsElEENS_6detail16IndexBoundsCheckILm4ElEESC_Lm4ESD_lEENS6_INS7_ISA_SB_Lm3ESD_lEESH_SB_Lm4ESD_lEEiiii ; -- Begin function _ZN2at6native12_GLOBAL__N_132replication_pad_forward_kernel2dIsEEvN5torch10headeronly6detail27GenericPackedTensorAccessorINS5_14TensorAccessorIN3c108ArrayRefIlEEKT_Lm3ENS4_16DefaultPtrTraitsElEENS_6detail16IndexBoundsCheckILm4ElEESC_Lm4ESD_lEENS6_INS7_ISA_SB_Lm3ESD_lEESH_SB_Lm4ESD_lEEiiii
	.p2align	8
	.type	_ZN2at6native12_GLOBAL__N_132replication_pad_forward_kernel2dIsEEvN5torch10headeronly6detail27GenericPackedTensorAccessorINS5_14TensorAccessorIN3c108ArrayRefIlEEKT_Lm3ENS4_16DefaultPtrTraitsElEENS_6detail16IndexBoundsCheckILm4ElEESC_Lm4ESD_lEENS6_INS7_ISA_SB_Lm3ESD_lEESH_SB_Lm4ESD_lEEiiii,@function
_ZN2at6native12_GLOBAL__N_132replication_pad_forward_kernel2dIsEEvN5torch10headeronly6detail27GenericPackedTensorAccessorINS5_14TensorAccessorIN3c108ArrayRefIlEEKT_Lm3ENS4_16DefaultPtrTraitsElEENS_6detail16IndexBoundsCheckILm4ElEESC_Lm4ESD_lEENS6_INS7_ISA_SB_Lm3ESD_lEESH_SB_Lm4ESD_lEEiiii: ; @_ZN2at6native12_GLOBAL__N_132replication_pad_forward_kernel2dIsEEvN5torch10headeronly6detail27GenericPackedTensorAccessorINS5_14TensorAccessorIN3c108ArrayRefIlEEKT_Lm3ENS4_16DefaultPtrTraitsElEENS_6detail16IndexBoundsCheckILm4ElEESC_Lm4ESD_lEENS6_INS7_ISA_SB_Lm3ESD_lEESH_SB_Lm4ESD_lEEiiii
; %bb.0:
	s_load_dword s9, s[4:5], 0xac
	s_load_dwordx4 s[0:3], s[4:5], 0x60
	s_waitcnt lgkmcnt(0)
	s_and_b32 s9, s9, 0xffff
	s_mul_i32 s6, s6, s9
	v_add_u32_e32 v0, s6, v0
	s_mul_i32 s1, s2, s1
	s_mul_hi_u32 s6, s2, s0
	s_add_i32 s1, s6, s1
	s_mul_i32 s6, s3, s0
	v_ashrrev_i32_e32 v1, 31, v0
	s_add_i32 s1, s1, s6
	s_mul_i32 s0, s2, s0
	v_cmp_gt_i64_e32 vcc, s[0:1], v[0:1]
	s_and_saveexec_b64 s[0:1], vcc
	s_cbranch_execz .LBB33_6
; %bb.1:
	v_or_b32_e32 v3, s3, v1
	v_mov_b32_e32 v2, 0
	v_cmp_ne_u64_e32 vcc, 0, v[2:3]
                                        ; implicit-def: $vgpr2_vgpr3
	s_and_saveexec_b64 s[0:1], vcc
	s_xor_b64 s[10:11], exec, s[0:1]
	s_cbranch_execz .LBB33_3
; %bb.2:
	s_ashr_i32 s12, s3, 31
	s_add_u32 s0, s2, s12
	s_mov_b32 s13, s12
	s_addc_u32 s1, s3, s12
	s_xor_b64 s[14:15], s[0:1], s[12:13]
	v_cvt_f32_u32_e32 v2, s14
	v_cvt_f32_u32_e32 v3, s15
	s_sub_u32 s6, 0, s14
	s_subb_u32 s9, 0, s15
	v_ashrrev_i32_e32 v6, 31, v1
	v_madmk_f32 v2, v3, 0x4f800000, v2
	v_rcp_f32_e32 v2, v2
	v_mul_f32_e32 v2, 0x5f7ffffc, v2
	v_mul_f32_e32 v3, 0x2f800000, v2
	v_trunc_f32_e32 v3, v3
	v_madmk_f32 v2, v3, 0xcf800000, v2
	v_cvt_u32_f32_e32 v3, v3
	v_cvt_u32_f32_e32 v2, v2
	v_readfirstlane_b32 s13, v3
	v_readfirstlane_b32 s0, v2
	s_mul_i32 s1, s6, s13
	s_mul_hi_u32 s17, s6, s0
	s_mul_i32 s16, s9, s0
	s_add_i32 s1, s17, s1
	s_add_i32 s1, s1, s16
	s_mul_i32 s18, s6, s0
	s_mul_i32 s17, s0, s1
	s_mul_hi_u32 s19, s0, s18
	s_mul_hi_u32 s16, s0, s1
	s_add_u32 s17, s19, s17
	s_addc_u32 s16, 0, s16
	s_mul_hi_u32 s20, s13, s18
	s_mul_i32 s18, s13, s18
	s_add_u32 s17, s17, s18
	s_mul_hi_u32 s19, s13, s1
	s_addc_u32 s16, s16, s20
	s_addc_u32 s17, s19, 0
	s_mul_i32 s1, s13, s1
	s_add_u32 s1, s16, s1
	s_addc_u32 s16, 0, s17
	s_add_u32 s17, s0, s1
	s_cselect_b64 s[0:1], -1, 0
	s_cmp_lg_u64 s[0:1], 0
	s_addc_u32 s13, s13, s16
	s_mul_i32 s0, s6, s13
	s_mul_hi_u32 s1, s6, s17
	s_add_i32 s0, s1, s0
	s_mul_i32 s9, s9, s17
	s_add_i32 s0, s0, s9
	s_mul_i32 s6, s6, s17
	s_mul_hi_u32 s9, s13, s6
	s_mul_i32 s16, s13, s6
	s_mul_i32 s19, s17, s0
	s_mul_hi_u32 s6, s17, s6
	s_mul_hi_u32 s18, s17, s0
	s_add_u32 s6, s6, s19
	s_addc_u32 s18, 0, s18
	s_add_u32 s6, s6, s16
	s_mul_hi_u32 s1, s13, s0
	s_addc_u32 s6, s18, s9
	s_addc_u32 s1, s1, 0
	s_mul_i32 s0, s13, s0
	s_add_u32 s0, s6, s0
	s_addc_u32 s6, 0, s1
	s_add_u32 s9, s17, s0
	s_cselect_b64 s[0:1], -1, 0
	s_cmp_lg_u64 s[0:1], 0
	v_add_co_u32_e32 v2, vcc, v0, v6
	s_addc_u32 s6, s13, s6
	v_xor_b32_e32 v7, v2, v6
	v_mad_u64_u32 v[2:3], s[0:1], v7, s6, 0
	v_mul_hi_u32 v5, v7, s9
	v_addc_co_u32_e32 v4, vcc, v1, v6, vcc
	v_xor_b32_e32 v8, v4, v6
	v_add_co_u32_e32 v9, vcc, v5, v2
	v_addc_co_u32_e32 v10, vcc, 0, v3, vcc
	v_mad_u64_u32 v[2:3], s[0:1], v8, s9, 0
	v_mad_u64_u32 v[4:5], s[0:1], v8, s6, 0
	v_add_co_u32_e32 v2, vcc, v9, v2
	v_addc_co_u32_e32 v2, vcc, v10, v3, vcc
	v_addc_co_u32_e32 v3, vcc, 0, v5, vcc
	v_add_co_u32_e32 v4, vcc, v2, v4
	v_addc_co_u32_e32 v5, vcc, 0, v3, vcc
	v_mul_lo_u32 v9, s15, v4
	v_mul_lo_u32 v10, s14, v5
	v_mad_u64_u32 v[2:3], s[0:1], s14, v4, 0
	v_add3_u32 v3, v3, v10, v9
	v_sub_u32_e32 v9, v8, v3
	v_mov_b32_e32 v10, s15
	v_sub_co_u32_e32 v2, vcc, v7, v2
	v_subb_co_u32_e64 v7, s[0:1], v9, v10, vcc
	v_subrev_co_u32_e64 v9, s[0:1], s14, v2
	v_subbrev_co_u32_e64 v7, s[0:1], 0, v7, s[0:1]
	v_cmp_le_u32_e64 s[0:1], s15, v7
	v_cndmask_b32_e64 v10, 0, -1, s[0:1]
	v_cmp_le_u32_e64 s[0:1], s14, v9
	v_cndmask_b32_e64 v9, 0, -1, s[0:1]
	v_cmp_eq_u32_e64 s[0:1], s15, v7
	v_cndmask_b32_e64 v7, v10, v9, s[0:1]
	v_add_co_u32_e64 v9, s[0:1], 2, v4
	v_subb_co_u32_e32 v3, vcc, v8, v3, vcc
	v_addc_co_u32_e64 v10, s[0:1], 0, v5, s[0:1]
	v_cmp_le_u32_e32 vcc, s15, v3
	v_add_co_u32_e64 v11, s[0:1], 1, v4
	v_cndmask_b32_e64 v8, 0, -1, vcc
	v_cmp_le_u32_e32 vcc, s14, v2
	v_addc_co_u32_e64 v12, s[0:1], 0, v5, s[0:1]
	v_cndmask_b32_e64 v2, 0, -1, vcc
	v_cmp_eq_u32_e32 vcc, s15, v3
	v_cmp_ne_u32_e64 s[0:1], 0, v7
	v_cndmask_b32_e32 v2, v8, v2, vcc
	v_cndmask_b32_e64 v7, v12, v10, s[0:1]
	v_cmp_ne_u32_e32 vcc, 0, v2
	v_cndmask_b32_e64 v3, v11, v9, s[0:1]
	v_cndmask_b32_e32 v2, v5, v7, vcc
	v_cndmask_b32_e32 v3, v4, v3, vcc
	v_xor_b32_e32 v4, s12, v6
	v_xor_b32_e32 v5, v2, v4
	;; [unrolled: 1-line block ×3, first 2 shown]
	v_sub_co_u32_e32 v2, vcc, v2, v4
	v_subb_co_u32_e32 v3, vcc, v5, v4, vcc
.LBB33_3:
	s_andn2_saveexec_b64 s[0:1], s[10:11]
	s_cbranch_execz .LBB33_5
; %bb.4:
	v_cvt_f32_u32_e32 v2, s2
	s_sub_i32 s6, 0, s2
	v_rcp_iflag_f32_e32 v2, v2
	v_mul_f32_e32 v2, 0x4f7ffffe, v2
	v_cvt_u32_f32_e32 v2, v2
	v_mul_lo_u32 v3, s6, v2
	v_mul_hi_u32 v3, v2, v3
	v_add_u32_e32 v2, v2, v3
	v_mul_hi_u32 v2, v0, v2
	v_mul_lo_u32 v3, v2, s2
	v_add_u32_e32 v4, 1, v2
	v_sub_u32_e32 v3, v0, v3
	v_subrev_u32_e32 v5, s2, v3
	v_cmp_le_u32_e32 vcc, s2, v3
	v_cndmask_b32_e32 v3, v3, v5, vcc
	v_cndmask_b32_e32 v2, v2, v4, vcc
	v_add_u32_e32 v4, 1, v2
	v_cmp_le_u32_e32 vcc, s2, v3
	v_cndmask_b32_e32 v2, v2, v4, vcc
	v_mov_b32_e32 v3, 0
.LBB33_5:
	s_or_b64 exec, exec, s[0:1]
	s_load_dwordx4 s[16:19], s[4:5], 0x90
	v_mul_lo_u32 v5, v3, s2
	v_mul_lo_u32 v6, v2, s3
	v_mad_u64_u32 v[3:4], s[0:1], v2, s2, 0
	s_waitcnt lgkmcnt(0)
	s_add_i32 s19, s19, s8
	s_load_dwordx8 s[8:15], s[4:5], 0x18
	v_add3_u32 v4, v4, v6, v5
	v_sub_co_u32_e32 v5, vcc, v0, v3
	s_sub_i32 s0, 0, s17
	s_waitcnt lgkmcnt(0)
	s_add_i32 s10, s17, s10
	s_max_i32 s20, s0, 0
	s_max_i32 s22, s17, 0
	v_max_i32_e32 v0, s17, v5
	s_add_i32 s10, s10, -1
	s_sub_i32 s0, 0, s16
	v_min_i32_e32 v0, s10, v0
	s_sub_i32 s10, s20, s22
	s_add_i32 s8, s16, s8
	s_max_i32 s21, s0, 0
	s_max_i32 s9, s16, 0
	v_add_u32_e32 v3, s10, v0
	v_max_i32_e32 v0, s16, v2
	s_add_i32 s8, s8, -1
	v_min_i32_e32 v0, s8, v0
	s_sub_i32 s8, s21, s9
	s_ashr_i32 s16, s19, 31
	s_add_i32 s18, s18, s7
	s_load_dwordx2 s[6:7], s[4:5], 0x0
	s_load_dwordx4 s[0:3], s[4:5], 0x38
	v_add_u32_e32 v0, s8, v0
	s_mul_i32 s8, s12, s16
	s_mul_hi_u32 s9, s12, s19
	s_add_i32 s8, s9, s8
	s_mul_i32 s9, s13, s19
	s_add_i32 s9, s8, s9
	s_mul_i32 s8, s12, s19
	s_lshl_b64 s[8:9], s[8:9], 1
	s_waitcnt lgkmcnt(0)
	s_add_u32 s8, s6, s8
	s_addc_u32 s9, s7, s9
	s_ashr_i32 s17, s18, 31
	v_subb_co_u32_e32 v6, vcc, v1, v4, vcc
	s_mul_i32 s6, s14, s17
	s_mul_hi_u32 s7, s14, s18
	v_ashrrev_i32_e32 v1, 31, v0
	s_add_i32 s6, s7, s6
	s_mul_i32 s7, s15, s18
	v_mul_lo_u32 v4, s0, v1
	v_mul_lo_u32 v7, s1, v0
	v_mad_u64_u32 v[0:1], s[0:1], s0, v0, 0
	s_add_i32 s7, s6, s7
	s_mul_i32 s6, s14, s18
	s_lshl_b64 s[0:1], s[6:7], 1
	s_add_u32 s6, s8, s0
	s_addc_u32 s0, s9, s1
	v_add3_u32 v1, v1, v4, v7
	v_ashrrev_i32_e32 v4, 31, v3
	v_mov_b32_e32 v7, s0
	v_mul_lo_u32 v8, s2, v4
	v_mul_lo_u32 v9, s3, v3
	v_mad_u64_u32 v[3:4], s[0:1], s2, v3, 0
	v_lshlrev_b64 v[0:1], 1, v[0:1]
	v_add_co_u32_e32 v10, vcc, s6, v0
	v_add3_u32 v4, v4, v8, v9
	v_addc_co_u32_e32 v7, vcc, v7, v1, vcc
	v_lshlrev_b64 v[0:1], 1, v[3:4]
	v_add_co_u32_e32 v0, vcc, v10, v0
	v_addc_co_u32_e32 v1, vcc, v7, v1, vcc
	global_load_ushort v4, v[0:1], off
	s_load_dwordx8 s[8:15], s[4:5], 0x70
	s_load_dwordx2 s[0:1], s[4:5], 0x48
	v_ashrrev_i32_e32 v0, 31, v2
	s_waitcnt lgkmcnt(0)
	s_mul_i32 s2, s8, s16
	s_mul_hi_u32 s3, s8, s19
	s_add_i32 s2, s3, s2
	s_mul_i32 s3, s9, s19
	s_add_i32 s3, s2, s3
	s_mul_i32 s2, s8, s19
	s_lshl_b64 s[2:3], s[2:3], 1
	s_add_u32 s4, s0, s2
	s_addc_u32 s5, s1, s3
	s_mul_i32 s0, s10, s17
	s_mul_hi_u32 s1, s10, s18
	s_add_i32 s0, s1, s0
	s_mul_i32 s1, s11, s18
	s_add_i32 s1, s0, s1
	s_mul_i32 s0, s10, s18
	v_mul_lo_u32 v3, s13, v2
	v_mul_lo_u32 v7, s12, v0
	v_mad_u64_u32 v[0:1], s[2:3], s12, v2, 0
	s_lshl_b64 s[0:1], s[0:1], 1
	s_add_u32 s2, s4, s0
	s_addc_u32 s0, s5, s1
	v_add3_u32 v1, v1, v7, v3
	v_mov_b32_e32 v7, s0
	v_mul_lo_u32 v8, s15, v5
	v_mul_lo_u32 v6, s14, v6
	v_mad_u64_u32 v[2:3], s[0:1], s14, v5, 0
	v_lshlrev_b64 v[0:1], 1, v[0:1]
	v_add_co_u32_e32 v5, vcc, s2, v0
	v_add3_u32 v3, v3, v6, v8
	v_addc_co_u32_e32 v7, vcc, v7, v1, vcc
	v_lshlrev_b64 v[0:1], 1, v[2:3]
	v_add_co_u32_e32 v0, vcc, v5, v0
	v_addc_co_u32_e32 v1, vcc, v7, v1, vcc
	s_waitcnt vmcnt(0)
	global_store_short v[0:1], v4, off
.LBB33_6:
	s_endpgm
	.section	.rodata,"a",@progbits
	.p2align	6, 0x0
	.amdhsa_kernel _ZN2at6native12_GLOBAL__N_132replication_pad_forward_kernel2dIsEEvN5torch10headeronly6detail27GenericPackedTensorAccessorINS5_14TensorAccessorIN3c108ArrayRefIlEEKT_Lm3ENS4_16DefaultPtrTraitsElEENS_6detail16IndexBoundsCheckILm4ElEESC_Lm4ESD_lEENS6_INS7_ISA_SB_Lm3ESD_lEESH_SB_Lm4ESD_lEEiiii
		.amdhsa_group_segment_fixed_size 0
		.amdhsa_private_segment_fixed_size 0
		.amdhsa_kernarg_size 416
		.amdhsa_user_sgpr_count 6
		.amdhsa_user_sgpr_private_segment_buffer 1
		.amdhsa_user_sgpr_dispatch_ptr 0
		.amdhsa_user_sgpr_queue_ptr 0
		.amdhsa_user_sgpr_kernarg_segment_ptr 1
		.amdhsa_user_sgpr_dispatch_id 0
		.amdhsa_user_sgpr_flat_scratch_init 0
		.amdhsa_user_sgpr_private_segment_size 0
		.amdhsa_uses_dynamic_stack 0
		.amdhsa_system_sgpr_private_segment_wavefront_offset 0
		.amdhsa_system_sgpr_workgroup_id_x 1
		.amdhsa_system_sgpr_workgroup_id_y 1
		.amdhsa_system_sgpr_workgroup_id_z 1
		.amdhsa_system_sgpr_workgroup_info 0
		.amdhsa_system_vgpr_workitem_id 0
		.amdhsa_next_free_vgpr 13
		.amdhsa_next_free_sgpr 23
		.amdhsa_reserve_vcc 1
		.amdhsa_reserve_flat_scratch 0
		.amdhsa_float_round_mode_32 0
		.amdhsa_float_round_mode_16_64 0
		.amdhsa_float_denorm_mode_32 3
		.amdhsa_float_denorm_mode_16_64 3
		.amdhsa_dx10_clamp 1
		.amdhsa_ieee_mode 1
		.amdhsa_fp16_overflow 0
		.amdhsa_exception_fp_ieee_invalid_op 0
		.amdhsa_exception_fp_denorm_src 0
		.amdhsa_exception_fp_ieee_div_zero 0
		.amdhsa_exception_fp_ieee_overflow 0
		.amdhsa_exception_fp_ieee_underflow 0
		.amdhsa_exception_fp_ieee_inexact 0
		.amdhsa_exception_int_div_zero 0
	.end_amdhsa_kernel
	.section	.text._ZN2at6native12_GLOBAL__N_132replication_pad_forward_kernel2dIsEEvN5torch10headeronly6detail27GenericPackedTensorAccessorINS5_14TensorAccessorIN3c108ArrayRefIlEEKT_Lm3ENS4_16DefaultPtrTraitsElEENS_6detail16IndexBoundsCheckILm4ElEESC_Lm4ESD_lEENS6_INS7_ISA_SB_Lm3ESD_lEESH_SB_Lm4ESD_lEEiiii,"axG",@progbits,_ZN2at6native12_GLOBAL__N_132replication_pad_forward_kernel2dIsEEvN5torch10headeronly6detail27GenericPackedTensorAccessorINS5_14TensorAccessorIN3c108ArrayRefIlEEKT_Lm3ENS4_16DefaultPtrTraitsElEENS_6detail16IndexBoundsCheckILm4ElEESC_Lm4ESD_lEENS6_INS7_ISA_SB_Lm3ESD_lEESH_SB_Lm4ESD_lEEiiii,comdat
.Lfunc_end33:
	.size	_ZN2at6native12_GLOBAL__N_132replication_pad_forward_kernel2dIsEEvN5torch10headeronly6detail27GenericPackedTensorAccessorINS5_14TensorAccessorIN3c108ArrayRefIlEEKT_Lm3ENS4_16DefaultPtrTraitsElEENS_6detail16IndexBoundsCheckILm4ElEESC_Lm4ESD_lEENS6_INS7_ISA_SB_Lm3ESD_lEESH_SB_Lm4ESD_lEEiiii, .Lfunc_end33-_ZN2at6native12_GLOBAL__N_132replication_pad_forward_kernel2dIsEEvN5torch10headeronly6detail27GenericPackedTensorAccessorINS5_14TensorAccessorIN3c108ArrayRefIlEEKT_Lm3ENS4_16DefaultPtrTraitsElEENS_6detail16IndexBoundsCheckILm4ElEESC_Lm4ESD_lEENS6_INS7_ISA_SB_Lm3ESD_lEESH_SB_Lm4ESD_lEEiiii
                                        ; -- End function
	.set _ZN2at6native12_GLOBAL__N_132replication_pad_forward_kernel2dIsEEvN5torch10headeronly6detail27GenericPackedTensorAccessorINS5_14TensorAccessorIN3c108ArrayRefIlEEKT_Lm3ENS4_16DefaultPtrTraitsElEENS_6detail16IndexBoundsCheckILm4ElEESC_Lm4ESD_lEENS6_INS7_ISA_SB_Lm3ESD_lEESH_SB_Lm4ESD_lEEiiii.num_vgpr, 13
	.set _ZN2at6native12_GLOBAL__N_132replication_pad_forward_kernel2dIsEEvN5torch10headeronly6detail27GenericPackedTensorAccessorINS5_14TensorAccessorIN3c108ArrayRefIlEEKT_Lm3ENS4_16DefaultPtrTraitsElEENS_6detail16IndexBoundsCheckILm4ElEESC_Lm4ESD_lEENS6_INS7_ISA_SB_Lm3ESD_lEESH_SB_Lm4ESD_lEEiiii.num_agpr, 0
	.set _ZN2at6native12_GLOBAL__N_132replication_pad_forward_kernel2dIsEEvN5torch10headeronly6detail27GenericPackedTensorAccessorINS5_14TensorAccessorIN3c108ArrayRefIlEEKT_Lm3ENS4_16DefaultPtrTraitsElEENS_6detail16IndexBoundsCheckILm4ElEESC_Lm4ESD_lEENS6_INS7_ISA_SB_Lm3ESD_lEESH_SB_Lm4ESD_lEEiiii.numbered_sgpr, 23
	.set _ZN2at6native12_GLOBAL__N_132replication_pad_forward_kernel2dIsEEvN5torch10headeronly6detail27GenericPackedTensorAccessorINS5_14TensorAccessorIN3c108ArrayRefIlEEKT_Lm3ENS4_16DefaultPtrTraitsElEENS_6detail16IndexBoundsCheckILm4ElEESC_Lm4ESD_lEENS6_INS7_ISA_SB_Lm3ESD_lEESH_SB_Lm4ESD_lEEiiii.num_named_barrier, 0
	.set _ZN2at6native12_GLOBAL__N_132replication_pad_forward_kernel2dIsEEvN5torch10headeronly6detail27GenericPackedTensorAccessorINS5_14TensorAccessorIN3c108ArrayRefIlEEKT_Lm3ENS4_16DefaultPtrTraitsElEENS_6detail16IndexBoundsCheckILm4ElEESC_Lm4ESD_lEENS6_INS7_ISA_SB_Lm3ESD_lEESH_SB_Lm4ESD_lEEiiii.private_seg_size, 0
	.set _ZN2at6native12_GLOBAL__N_132replication_pad_forward_kernel2dIsEEvN5torch10headeronly6detail27GenericPackedTensorAccessorINS5_14TensorAccessorIN3c108ArrayRefIlEEKT_Lm3ENS4_16DefaultPtrTraitsElEENS_6detail16IndexBoundsCheckILm4ElEESC_Lm4ESD_lEENS6_INS7_ISA_SB_Lm3ESD_lEESH_SB_Lm4ESD_lEEiiii.uses_vcc, 1
	.set _ZN2at6native12_GLOBAL__N_132replication_pad_forward_kernel2dIsEEvN5torch10headeronly6detail27GenericPackedTensorAccessorINS5_14TensorAccessorIN3c108ArrayRefIlEEKT_Lm3ENS4_16DefaultPtrTraitsElEENS_6detail16IndexBoundsCheckILm4ElEESC_Lm4ESD_lEENS6_INS7_ISA_SB_Lm3ESD_lEESH_SB_Lm4ESD_lEEiiii.uses_flat_scratch, 0
	.set _ZN2at6native12_GLOBAL__N_132replication_pad_forward_kernel2dIsEEvN5torch10headeronly6detail27GenericPackedTensorAccessorINS5_14TensorAccessorIN3c108ArrayRefIlEEKT_Lm3ENS4_16DefaultPtrTraitsElEENS_6detail16IndexBoundsCheckILm4ElEESC_Lm4ESD_lEENS6_INS7_ISA_SB_Lm3ESD_lEESH_SB_Lm4ESD_lEEiiii.has_dyn_sized_stack, 0
	.set _ZN2at6native12_GLOBAL__N_132replication_pad_forward_kernel2dIsEEvN5torch10headeronly6detail27GenericPackedTensorAccessorINS5_14TensorAccessorIN3c108ArrayRefIlEEKT_Lm3ENS4_16DefaultPtrTraitsElEENS_6detail16IndexBoundsCheckILm4ElEESC_Lm4ESD_lEENS6_INS7_ISA_SB_Lm3ESD_lEESH_SB_Lm4ESD_lEEiiii.has_recursion, 0
	.set _ZN2at6native12_GLOBAL__N_132replication_pad_forward_kernel2dIsEEvN5torch10headeronly6detail27GenericPackedTensorAccessorINS5_14TensorAccessorIN3c108ArrayRefIlEEKT_Lm3ENS4_16DefaultPtrTraitsElEENS_6detail16IndexBoundsCheckILm4ElEESC_Lm4ESD_lEENS6_INS7_ISA_SB_Lm3ESD_lEESH_SB_Lm4ESD_lEEiiii.has_indirect_call, 0
	.section	.AMDGPU.csdata,"",@progbits
; Kernel info:
; codeLenInByte = 1396
; TotalNumSgprs: 27
; NumVgprs: 13
; ScratchSize: 0
; MemoryBound: 0
; FloatMode: 240
; IeeeMode: 1
; LDSByteSize: 0 bytes/workgroup (compile time only)
; SGPRBlocks: 3
; VGPRBlocks: 3
; NumSGPRsForWavesPerEU: 27
; NumVGPRsForWavesPerEU: 13
; Occupancy: 10
; WaveLimiterHint : 1
; COMPUTE_PGM_RSRC2:SCRATCH_EN: 0
; COMPUTE_PGM_RSRC2:USER_SGPR: 6
; COMPUTE_PGM_RSRC2:TRAP_HANDLER: 0
; COMPUTE_PGM_RSRC2:TGID_X_EN: 1
; COMPUTE_PGM_RSRC2:TGID_Y_EN: 1
; COMPUTE_PGM_RSRC2:TGID_Z_EN: 1
; COMPUTE_PGM_RSRC2:TIDIG_COMP_CNT: 0
	.section	.text._ZN2at6native12_GLOBAL__N_132replication_pad_forward_kernel2dIdEEvN5torch10headeronly6detail27GenericPackedTensorAccessorINS5_14TensorAccessorIN3c108ArrayRefIlEEKT_Lm3ENS4_16DefaultPtrTraitsElEENS_6detail16IndexBoundsCheckILm4ElEESC_Lm4ESD_lEENS6_INS7_ISA_SB_Lm3ESD_lEESH_SB_Lm4ESD_lEEiiii,"axG",@progbits,_ZN2at6native12_GLOBAL__N_132replication_pad_forward_kernel2dIdEEvN5torch10headeronly6detail27GenericPackedTensorAccessorINS5_14TensorAccessorIN3c108ArrayRefIlEEKT_Lm3ENS4_16DefaultPtrTraitsElEENS_6detail16IndexBoundsCheckILm4ElEESC_Lm4ESD_lEENS6_INS7_ISA_SB_Lm3ESD_lEESH_SB_Lm4ESD_lEEiiii,comdat
	.globl	_ZN2at6native12_GLOBAL__N_132replication_pad_forward_kernel2dIdEEvN5torch10headeronly6detail27GenericPackedTensorAccessorINS5_14TensorAccessorIN3c108ArrayRefIlEEKT_Lm3ENS4_16DefaultPtrTraitsElEENS_6detail16IndexBoundsCheckILm4ElEESC_Lm4ESD_lEENS6_INS7_ISA_SB_Lm3ESD_lEESH_SB_Lm4ESD_lEEiiii ; -- Begin function _ZN2at6native12_GLOBAL__N_132replication_pad_forward_kernel2dIdEEvN5torch10headeronly6detail27GenericPackedTensorAccessorINS5_14TensorAccessorIN3c108ArrayRefIlEEKT_Lm3ENS4_16DefaultPtrTraitsElEENS_6detail16IndexBoundsCheckILm4ElEESC_Lm4ESD_lEENS6_INS7_ISA_SB_Lm3ESD_lEESH_SB_Lm4ESD_lEEiiii
	.p2align	8
	.type	_ZN2at6native12_GLOBAL__N_132replication_pad_forward_kernel2dIdEEvN5torch10headeronly6detail27GenericPackedTensorAccessorINS5_14TensorAccessorIN3c108ArrayRefIlEEKT_Lm3ENS4_16DefaultPtrTraitsElEENS_6detail16IndexBoundsCheckILm4ElEESC_Lm4ESD_lEENS6_INS7_ISA_SB_Lm3ESD_lEESH_SB_Lm4ESD_lEEiiii,@function
_ZN2at6native12_GLOBAL__N_132replication_pad_forward_kernel2dIdEEvN5torch10headeronly6detail27GenericPackedTensorAccessorINS5_14TensorAccessorIN3c108ArrayRefIlEEKT_Lm3ENS4_16DefaultPtrTraitsElEENS_6detail16IndexBoundsCheckILm4ElEESC_Lm4ESD_lEENS6_INS7_ISA_SB_Lm3ESD_lEESH_SB_Lm4ESD_lEEiiii: ; @_ZN2at6native12_GLOBAL__N_132replication_pad_forward_kernel2dIdEEvN5torch10headeronly6detail27GenericPackedTensorAccessorINS5_14TensorAccessorIN3c108ArrayRefIlEEKT_Lm3ENS4_16DefaultPtrTraitsElEENS_6detail16IndexBoundsCheckILm4ElEESC_Lm4ESD_lEENS6_INS7_ISA_SB_Lm3ESD_lEESH_SB_Lm4ESD_lEEiiii
; %bb.0:
	s_load_dword s9, s[4:5], 0xac
	s_load_dwordx4 s[0:3], s[4:5], 0x60
	s_waitcnt lgkmcnt(0)
	s_and_b32 s9, s9, 0xffff
	s_mul_i32 s6, s6, s9
	v_add_u32_e32 v0, s6, v0
	s_mul_i32 s1, s2, s1
	s_mul_hi_u32 s6, s2, s0
	s_add_i32 s1, s6, s1
	s_mul_i32 s6, s3, s0
	v_ashrrev_i32_e32 v1, 31, v0
	s_add_i32 s1, s1, s6
	s_mul_i32 s0, s2, s0
	v_cmp_gt_i64_e32 vcc, s[0:1], v[0:1]
	s_and_saveexec_b64 s[0:1], vcc
	s_cbranch_execz .LBB34_6
; %bb.1:
	v_or_b32_e32 v3, s3, v1
	v_mov_b32_e32 v2, 0
	v_cmp_ne_u64_e32 vcc, 0, v[2:3]
                                        ; implicit-def: $vgpr2_vgpr3
	s_and_saveexec_b64 s[0:1], vcc
	s_xor_b64 s[10:11], exec, s[0:1]
	s_cbranch_execz .LBB34_3
; %bb.2:
	s_ashr_i32 s12, s3, 31
	s_add_u32 s0, s2, s12
	s_mov_b32 s13, s12
	s_addc_u32 s1, s3, s12
	s_xor_b64 s[14:15], s[0:1], s[12:13]
	v_cvt_f32_u32_e32 v2, s14
	v_cvt_f32_u32_e32 v3, s15
	s_sub_u32 s6, 0, s14
	s_subb_u32 s9, 0, s15
	v_ashrrev_i32_e32 v6, 31, v1
	v_madmk_f32 v2, v3, 0x4f800000, v2
	v_rcp_f32_e32 v2, v2
	v_mul_f32_e32 v2, 0x5f7ffffc, v2
	v_mul_f32_e32 v3, 0x2f800000, v2
	v_trunc_f32_e32 v3, v3
	v_madmk_f32 v2, v3, 0xcf800000, v2
	v_cvt_u32_f32_e32 v3, v3
	v_cvt_u32_f32_e32 v2, v2
	v_readfirstlane_b32 s13, v3
	v_readfirstlane_b32 s0, v2
	s_mul_i32 s1, s6, s13
	s_mul_hi_u32 s17, s6, s0
	s_mul_i32 s16, s9, s0
	s_add_i32 s1, s17, s1
	s_add_i32 s1, s1, s16
	s_mul_i32 s18, s6, s0
	s_mul_i32 s17, s0, s1
	s_mul_hi_u32 s19, s0, s18
	s_mul_hi_u32 s16, s0, s1
	s_add_u32 s17, s19, s17
	s_addc_u32 s16, 0, s16
	s_mul_hi_u32 s20, s13, s18
	s_mul_i32 s18, s13, s18
	s_add_u32 s17, s17, s18
	s_mul_hi_u32 s19, s13, s1
	s_addc_u32 s16, s16, s20
	s_addc_u32 s17, s19, 0
	s_mul_i32 s1, s13, s1
	s_add_u32 s1, s16, s1
	s_addc_u32 s16, 0, s17
	s_add_u32 s17, s0, s1
	s_cselect_b64 s[0:1], -1, 0
	s_cmp_lg_u64 s[0:1], 0
	s_addc_u32 s13, s13, s16
	s_mul_i32 s0, s6, s13
	s_mul_hi_u32 s1, s6, s17
	s_add_i32 s0, s1, s0
	s_mul_i32 s9, s9, s17
	s_add_i32 s0, s0, s9
	s_mul_i32 s6, s6, s17
	s_mul_hi_u32 s9, s13, s6
	s_mul_i32 s16, s13, s6
	s_mul_i32 s19, s17, s0
	s_mul_hi_u32 s6, s17, s6
	s_mul_hi_u32 s18, s17, s0
	s_add_u32 s6, s6, s19
	s_addc_u32 s18, 0, s18
	s_add_u32 s6, s6, s16
	s_mul_hi_u32 s1, s13, s0
	s_addc_u32 s6, s18, s9
	s_addc_u32 s1, s1, 0
	s_mul_i32 s0, s13, s0
	s_add_u32 s0, s6, s0
	s_addc_u32 s6, 0, s1
	s_add_u32 s9, s17, s0
	s_cselect_b64 s[0:1], -1, 0
	s_cmp_lg_u64 s[0:1], 0
	v_add_co_u32_e32 v2, vcc, v0, v6
	s_addc_u32 s6, s13, s6
	v_xor_b32_e32 v7, v2, v6
	v_mad_u64_u32 v[2:3], s[0:1], v7, s6, 0
	v_mul_hi_u32 v5, v7, s9
	v_addc_co_u32_e32 v4, vcc, v1, v6, vcc
	v_xor_b32_e32 v8, v4, v6
	v_add_co_u32_e32 v9, vcc, v5, v2
	v_addc_co_u32_e32 v10, vcc, 0, v3, vcc
	v_mad_u64_u32 v[2:3], s[0:1], v8, s9, 0
	v_mad_u64_u32 v[4:5], s[0:1], v8, s6, 0
	v_add_co_u32_e32 v2, vcc, v9, v2
	v_addc_co_u32_e32 v2, vcc, v10, v3, vcc
	v_addc_co_u32_e32 v3, vcc, 0, v5, vcc
	v_add_co_u32_e32 v4, vcc, v2, v4
	v_addc_co_u32_e32 v5, vcc, 0, v3, vcc
	v_mul_lo_u32 v9, s15, v4
	v_mul_lo_u32 v10, s14, v5
	v_mad_u64_u32 v[2:3], s[0:1], s14, v4, 0
	v_add3_u32 v3, v3, v10, v9
	v_sub_u32_e32 v9, v8, v3
	v_mov_b32_e32 v10, s15
	v_sub_co_u32_e32 v2, vcc, v7, v2
	v_subb_co_u32_e64 v7, s[0:1], v9, v10, vcc
	v_subrev_co_u32_e64 v9, s[0:1], s14, v2
	v_subbrev_co_u32_e64 v7, s[0:1], 0, v7, s[0:1]
	v_cmp_le_u32_e64 s[0:1], s15, v7
	v_cndmask_b32_e64 v10, 0, -1, s[0:1]
	v_cmp_le_u32_e64 s[0:1], s14, v9
	v_cndmask_b32_e64 v9, 0, -1, s[0:1]
	v_cmp_eq_u32_e64 s[0:1], s15, v7
	v_cndmask_b32_e64 v7, v10, v9, s[0:1]
	v_add_co_u32_e64 v9, s[0:1], 2, v4
	v_subb_co_u32_e32 v3, vcc, v8, v3, vcc
	v_addc_co_u32_e64 v10, s[0:1], 0, v5, s[0:1]
	v_cmp_le_u32_e32 vcc, s15, v3
	v_add_co_u32_e64 v11, s[0:1], 1, v4
	v_cndmask_b32_e64 v8, 0, -1, vcc
	v_cmp_le_u32_e32 vcc, s14, v2
	v_addc_co_u32_e64 v12, s[0:1], 0, v5, s[0:1]
	v_cndmask_b32_e64 v2, 0, -1, vcc
	v_cmp_eq_u32_e32 vcc, s15, v3
	v_cmp_ne_u32_e64 s[0:1], 0, v7
	v_cndmask_b32_e32 v2, v8, v2, vcc
	v_cndmask_b32_e64 v7, v12, v10, s[0:1]
	v_cmp_ne_u32_e32 vcc, 0, v2
	v_cndmask_b32_e64 v3, v11, v9, s[0:1]
	v_cndmask_b32_e32 v2, v5, v7, vcc
	v_cndmask_b32_e32 v3, v4, v3, vcc
	v_xor_b32_e32 v4, s12, v6
	v_xor_b32_e32 v5, v2, v4
	;; [unrolled: 1-line block ×3, first 2 shown]
	v_sub_co_u32_e32 v2, vcc, v2, v4
	v_subb_co_u32_e32 v3, vcc, v5, v4, vcc
.LBB34_3:
	s_andn2_saveexec_b64 s[0:1], s[10:11]
	s_cbranch_execz .LBB34_5
; %bb.4:
	v_cvt_f32_u32_e32 v2, s2
	s_sub_i32 s6, 0, s2
	v_rcp_iflag_f32_e32 v2, v2
	v_mul_f32_e32 v2, 0x4f7ffffe, v2
	v_cvt_u32_f32_e32 v2, v2
	v_mul_lo_u32 v3, s6, v2
	v_mul_hi_u32 v3, v2, v3
	v_add_u32_e32 v2, v2, v3
	v_mul_hi_u32 v2, v0, v2
	v_mul_lo_u32 v3, v2, s2
	v_add_u32_e32 v4, 1, v2
	v_sub_u32_e32 v3, v0, v3
	v_subrev_u32_e32 v5, s2, v3
	v_cmp_le_u32_e32 vcc, s2, v3
	v_cndmask_b32_e32 v3, v3, v5, vcc
	v_cndmask_b32_e32 v2, v2, v4, vcc
	v_add_u32_e32 v4, 1, v2
	v_cmp_le_u32_e32 vcc, s2, v3
	v_cndmask_b32_e32 v2, v2, v4, vcc
	v_mov_b32_e32 v3, 0
.LBB34_5:
	s_or_b64 exec, exec, s[0:1]
	s_load_dwordx4 s[16:19], s[4:5], 0x90
	v_mul_lo_u32 v5, v3, s2
	v_mul_lo_u32 v6, v2, s3
	v_mad_u64_u32 v[3:4], s[0:1], v2, s2, 0
	s_waitcnt lgkmcnt(0)
	s_add_i32 s19, s19, s8
	s_load_dwordx8 s[8:15], s[4:5], 0x18
	v_add3_u32 v4, v4, v6, v5
	v_sub_co_u32_e32 v5, vcc, v0, v3
	s_sub_i32 s0, 0, s17
	s_waitcnt lgkmcnt(0)
	s_add_i32 s10, s17, s10
	s_max_i32 s20, s0, 0
	s_max_i32 s22, s17, 0
	v_max_i32_e32 v0, s17, v5
	s_add_i32 s10, s10, -1
	s_sub_i32 s0, 0, s16
	v_min_i32_e32 v0, s10, v0
	s_sub_i32 s10, s20, s22
	s_add_i32 s8, s16, s8
	s_max_i32 s21, s0, 0
	s_max_i32 s9, s16, 0
	v_add_u32_e32 v3, s10, v0
	v_max_i32_e32 v0, s16, v2
	s_add_i32 s8, s8, -1
	v_min_i32_e32 v0, s8, v0
	s_sub_i32 s8, s21, s9
	s_ashr_i32 s16, s19, 31
	s_add_i32 s18, s18, s7
	s_load_dwordx2 s[6:7], s[4:5], 0x0
	s_load_dwordx4 s[0:3], s[4:5], 0x38
	v_add_u32_e32 v0, s8, v0
	s_mul_i32 s8, s12, s16
	s_mul_hi_u32 s9, s12, s19
	s_add_i32 s8, s9, s8
	s_mul_i32 s9, s13, s19
	s_add_i32 s9, s8, s9
	s_mul_i32 s8, s12, s19
	s_lshl_b64 s[8:9], s[8:9], 3
	s_waitcnt lgkmcnt(0)
	s_add_u32 s8, s6, s8
	s_addc_u32 s9, s7, s9
	s_ashr_i32 s17, s18, 31
	v_subb_co_u32_e32 v6, vcc, v1, v4, vcc
	s_mul_i32 s6, s14, s17
	s_mul_hi_u32 s7, s14, s18
	v_ashrrev_i32_e32 v1, 31, v0
	s_add_i32 s6, s7, s6
	s_mul_i32 s7, s15, s18
	v_mul_lo_u32 v4, s0, v1
	v_mul_lo_u32 v7, s1, v0
	v_mad_u64_u32 v[0:1], s[0:1], s0, v0, 0
	s_add_i32 s7, s6, s7
	s_mul_i32 s6, s14, s18
	s_lshl_b64 s[0:1], s[6:7], 3
	s_add_u32 s6, s8, s0
	s_addc_u32 s0, s9, s1
	v_add3_u32 v1, v1, v4, v7
	v_ashrrev_i32_e32 v4, 31, v3
	v_mov_b32_e32 v7, s0
	v_mul_lo_u32 v8, s2, v4
	v_mul_lo_u32 v9, s3, v3
	v_mad_u64_u32 v[3:4], s[0:1], s2, v3, 0
	v_lshlrev_b64 v[0:1], 3, v[0:1]
	v_add_co_u32_e32 v10, vcc, s6, v0
	v_add3_u32 v4, v4, v8, v9
	v_addc_co_u32_e32 v7, vcc, v7, v1, vcc
	v_lshlrev_b64 v[0:1], 3, v[3:4]
	v_ashrrev_i32_e32 v3, 31, v2
	v_add_co_u32_e32 v0, vcc, v10, v0
	v_addc_co_u32_e32 v1, vcc, v7, v1, vcc
	global_load_dwordx2 v[0:1], v[0:1], off
	s_load_dwordx8 s[8:15], s[4:5], 0x70
	s_load_dwordx2 s[0:1], s[4:5], 0x48
	s_waitcnt lgkmcnt(0)
	s_mul_i32 s2, s8, s16
	s_mul_hi_u32 s3, s8, s19
	s_add_i32 s2, s3, s2
	s_mul_i32 s3, s9, s19
	s_add_i32 s3, s2, s3
	s_mul_i32 s2, s8, s19
	s_lshl_b64 s[2:3], s[2:3], 3
	s_add_u32 s4, s0, s2
	s_addc_u32 s5, s1, s3
	s_mul_i32 s0, s10, s17
	s_mul_hi_u32 s1, s10, s18
	s_add_i32 s0, s1, s0
	s_mul_i32 s1, s11, s18
	s_add_i32 s1, s0, s1
	s_mul_i32 s0, s10, s18
	v_mul_lo_u32 v4, s13, v2
	v_mul_lo_u32 v7, s12, v3
	v_mad_u64_u32 v[2:3], s[2:3], s12, v2, 0
	s_lshl_b64 s[0:1], s[0:1], 3
	s_add_u32 s2, s4, s0
	s_addc_u32 s0, s5, s1
	v_add3_u32 v3, v3, v7, v4
	v_mov_b32_e32 v7, s0
	v_mul_lo_u32 v8, s15, v5
	v_mul_lo_u32 v6, s14, v6
	v_mad_u64_u32 v[4:5], s[0:1], s14, v5, 0
	v_lshlrev_b64 v[2:3], 3, v[2:3]
	v_add_co_u32_e32 v9, vcc, s2, v2
	v_add3_u32 v5, v5, v6, v8
	v_addc_co_u32_e32 v7, vcc, v7, v3, vcc
	v_lshlrev_b64 v[2:3], 3, v[4:5]
	v_add_co_u32_e32 v2, vcc, v9, v2
	v_addc_co_u32_e32 v3, vcc, v7, v3, vcc
	s_waitcnt vmcnt(0)
	global_store_dwordx2 v[2:3], v[0:1], off
.LBB34_6:
	s_endpgm
	.section	.rodata,"a",@progbits
	.p2align	6, 0x0
	.amdhsa_kernel _ZN2at6native12_GLOBAL__N_132replication_pad_forward_kernel2dIdEEvN5torch10headeronly6detail27GenericPackedTensorAccessorINS5_14TensorAccessorIN3c108ArrayRefIlEEKT_Lm3ENS4_16DefaultPtrTraitsElEENS_6detail16IndexBoundsCheckILm4ElEESC_Lm4ESD_lEENS6_INS7_ISA_SB_Lm3ESD_lEESH_SB_Lm4ESD_lEEiiii
		.amdhsa_group_segment_fixed_size 0
		.amdhsa_private_segment_fixed_size 0
		.amdhsa_kernarg_size 416
		.amdhsa_user_sgpr_count 6
		.amdhsa_user_sgpr_private_segment_buffer 1
		.amdhsa_user_sgpr_dispatch_ptr 0
		.amdhsa_user_sgpr_queue_ptr 0
		.amdhsa_user_sgpr_kernarg_segment_ptr 1
		.amdhsa_user_sgpr_dispatch_id 0
		.amdhsa_user_sgpr_flat_scratch_init 0
		.amdhsa_user_sgpr_private_segment_size 0
		.amdhsa_uses_dynamic_stack 0
		.amdhsa_system_sgpr_private_segment_wavefront_offset 0
		.amdhsa_system_sgpr_workgroup_id_x 1
		.amdhsa_system_sgpr_workgroup_id_y 1
		.amdhsa_system_sgpr_workgroup_id_z 1
		.amdhsa_system_sgpr_workgroup_info 0
		.amdhsa_system_vgpr_workitem_id 0
		.amdhsa_next_free_vgpr 13
		.amdhsa_next_free_sgpr 23
		.amdhsa_reserve_vcc 1
		.amdhsa_reserve_flat_scratch 0
		.amdhsa_float_round_mode_32 0
		.amdhsa_float_round_mode_16_64 0
		.amdhsa_float_denorm_mode_32 3
		.amdhsa_float_denorm_mode_16_64 3
		.amdhsa_dx10_clamp 1
		.amdhsa_ieee_mode 1
		.amdhsa_fp16_overflow 0
		.amdhsa_exception_fp_ieee_invalid_op 0
		.amdhsa_exception_fp_denorm_src 0
		.amdhsa_exception_fp_ieee_div_zero 0
		.amdhsa_exception_fp_ieee_overflow 0
		.amdhsa_exception_fp_ieee_underflow 0
		.amdhsa_exception_fp_ieee_inexact 0
		.amdhsa_exception_int_div_zero 0
	.end_amdhsa_kernel
	.section	.text._ZN2at6native12_GLOBAL__N_132replication_pad_forward_kernel2dIdEEvN5torch10headeronly6detail27GenericPackedTensorAccessorINS5_14TensorAccessorIN3c108ArrayRefIlEEKT_Lm3ENS4_16DefaultPtrTraitsElEENS_6detail16IndexBoundsCheckILm4ElEESC_Lm4ESD_lEENS6_INS7_ISA_SB_Lm3ESD_lEESH_SB_Lm4ESD_lEEiiii,"axG",@progbits,_ZN2at6native12_GLOBAL__N_132replication_pad_forward_kernel2dIdEEvN5torch10headeronly6detail27GenericPackedTensorAccessorINS5_14TensorAccessorIN3c108ArrayRefIlEEKT_Lm3ENS4_16DefaultPtrTraitsElEENS_6detail16IndexBoundsCheckILm4ElEESC_Lm4ESD_lEENS6_INS7_ISA_SB_Lm3ESD_lEESH_SB_Lm4ESD_lEEiiii,comdat
.Lfunc_end34:
	.size	_ZN2at6native12_GLOBAL__N_132replication_pad_forward_kernel2dIdEEvN5torch10headeronly6detail27GenericPackedTensorAccessorINS5_14TensorAccessorIN3c108ArrayRefIlEEKT_Lm3ENS4_16DefaultPtrTraitsElEENS_6detail16IndexBoundsCheckILm4ElEESC_Lm4ESD_lEENS6_INS7_ISA_SB_Lm3ESD_lEESH_SB_Lm4ESD_lEEiiii, .Lfunc_end34-_ZN2at6native12_GLOBAL__N_132replication_pad_forward_kernel2dIdEEvN5torch10headeronly6detail27GenericPackedTensorAccessorINS5_14TensorAccessorIN3c108ArrayRefIlEEKT_Lm3ENS4_16DefaultPtrTraitsElEENS_6detail16IndexBoundsCheckILm4ElEESC_Lm4ESD_lEENS6_INS7_ISA_SB_Lm3ESD_lEESH_SB_Lm4ESD_lEEiiii
                                        ; -- End function
	.set _ZN2at6native12_GLOBAL__N_132replication_pad_forward_kernel2dIdEEvN5torch10headeronly6detail27GenericPackedTensorAccessorINS5_14TensorAccessorIN3c108ArrayRefIlEEKT_Lm3ENS4_16DefaultPtrTraitsElEENS_6detail16IndexBoundsCheckILm4ElEESC_Lm4ESD_lEENS6_INS7_ISA_SB_Lm3ESD_lEESH_SB_Lm4ESD_lEEiiii.num_vgpr, 13
	.set _ZN2at6native12_GLOBAL__N_132replication_pad_forward_kernel2dIdEEvN5torch10headeronly6detail27GenericPackedTensorAccessorINS5_14TensorAccessorIN3c108ArrayRefIlEEKT_Lm3ENS4_16DefaultPtrTraitsElEENS_6detail16IndexBoundsCheckILm4ElEESC_Lm4ESD_lEENS6_INS7_ISA_SB_Lm3ESD_lEESH_SB_Lm4ESD_lEEiiii.num_agpr, 0
	.set _ZN2at6native12_GLOBAL__N_132replication_pad_forward_kernel2dIdEEvN5torch10headeronly6detail27GenericPackedTensorAccessorINS5_14TensorAccessorIN3c108ArrayRefIlEEKT_Lm3ENS4_16DefaultPtrTraitsElEENS_6detail16IndexBoundsCheckILm4ElEESC_Lm4ESD_lEENS6_INS7_ISA_SB_Lm3ESD_lEESH_SB_Lm4ESD_lEEiiii.numbered_sgpr, 23
	.set _ZN2at6native12_GLOBAL__N_132replication_pad_forward_kernel2dIdEEvN5torch10headeronly6detail27GenericPackedTensorAccessorINS5_14TensorAccessorIN3c108ArrayRefIlEEKT_Lm3ENS4_16DefaultPtrTraitsElEENS_6detail16IndexBoundsCheckILm4ElEESC_Lm4ESD_lEENS6_INS7_ISA_SB_Lm3ESD_lEESH_SB_Lm4ESD_lEEiiii.num_named_barrier, 0
	.set _ZN2at6native12_GLOBAL__N_132replication_pad_forward_kernel2dIdEEvN5torch10headeronly6detail27GenericPackedTensorAccessorINS5_14TensorAccessorIN3c108ArrayRefIlEEKT_Lm3ENS4_16DefaultPtrTraitsElEENS_6detail16IndexBoundsCheckILm4ElEESC_Lm4ESD_lEENS6_INS7_ISA_SB_Lm3ESD_lEESH_SB_Lm4ESD_lEEiiii.private_seg_size, 0
	.set _ZN2at6native12_GLOBAL__N_132replication_pad_forward_kernel2dIdEEvN5torch10headeronly6detail27GenericPackedTensorAccessorINS5_14TensorAccessorIN3c108ArrayRefIlEEKT_Lm3ENS4_16DefaultPtrTraitsElEENS_6detail16IndexBoundsCheckILm4ElEESC_Lm4ESD_lEENS6_INS7_ISA_SB_Lm3ESD_lEESH_SB_Lm4ESD_lEEiiii.uses_vcc, 1
	.set _ZN2at6native12_GLOBAL__N_132replication_pad_forward_kernel2dIdEEvN5torch10headeronly6detail27GenericPackedTensorAccessorINS5_14TensorAccessorIN3c108ArrayRefIlEEKT_Lm3ENS4_16DefaultPtrTraitsElEENS_6detail16IndexBoundsCheckILm4ElEESC_Lm4ESD_lEENS6_INS7_ISA_SB_Lm3ESD_lEESH_SB_Lm4ESD_lEEiiii.uses_flat_scratch, 0
	.set _ZN2at6native12_GLOBAL__N_132replication_pad_forward_kernel2dIdEEvN5torch10headeronly6detail27GenericPackedTensorAccessorINS5_14TensorAccessorIN3c108ArrayRefIlEEKT_Lm3ENS4_16DefaultPtrTraitsElEENS_6detail16IndexBoundsCheckILm4ElEESC_Lm4ESD_lEENS6_INS7_ISA_SB_Lm3ESD_lEESH_SB_Lm4ESD_lEEiiii.has_dyn_sized_stack, 0
	.set _ZN2at6native12_GLOBAL__N_132replication_pad_forward_kernel2dIdEEvN5torch10headeronly6detail27GenericPackedTensorAccessorINS5_14TensorAccessorIN3c108ArrayRefIlEEKT_Lm3ENS4_16DefaultPtrTraitsElEENS_6detail16IndexBoundsCheckILm4ElEESC_Lm4ESD_lEENS6_INS7_ISA_SB_Lm3ESD_lEESH_SB_Lm4ESD_lEEiiii.has_recursion, 0
	.set _ZN2at6native12_GLOBAL__N_132replication_pad_forward_kernel2dIdEEvN5torch10headeronly6detail27GenericPackedTensorAccessorINS5_14TensorAccessorIN3c108ArrayRefIlEEKT_Lm3ENS4_16DefaultPtrTraitsElEENS_6detail16IndexBoundsCheckILm4ElEESC_Lm4ESD_lEENS6_INS7_ISA_SB_Lm3ESD_lEESH_SB_Lm4ESD_lEEiiii.has_indirect_call, 0
	.section	.AMDGPU.csdata,"",@progbits
; Kernel info:
; codeLenInByte = 1396
; TotalNumSgprs: 27
; NumVgprs: 13
; ScratchSize: 0
; MemoryBound: 0
; FloatMode: 240
; IeeeMode: 1
; LDSByteSize: 0 bytes/workgroup (compile time only)
; SGPRBlocks: 3
; VGPRBlocks: 3
; NumSGPRsForWavesPerEU: 27
; NumVGPRsForWavesPerEU: 13
; Occupancy: 10
; WaveLimiterHint : 1
; COMPUTE_PGM_RSRC2:SCRATCH_EN: 0
; COMPUTE_PGM_RSRC2:USER_SGPR: 6
; COMPUTE_PGM_RSRC2:TRAP_HANDLER: 0
; COMPUTE_PGM_RSRC2:TGID_X_EN: 1
; COMPUTE_PGM_RSRC2:TGID_Y_EN: 1
; COMPUTE_PGM_RSRC2:TGID_Z_EN: 1
; COMPUTE_PGM_RSRC2:TIDIG_COMP_CNT: 0
	.section	.text._ZN2at6native12_GLOBAL__N_132replication_pad_forward_kernel2dIfEEvN5torch10headeronly6detail27GenericPackedTensorAccessorINS5_14TensorAccessorIN3c108ArrayRefIlEEKT_Lm3ENS4_16DefaultPtrTraitsElEENS_6detail16IndexBoundsCheckILm4ElEESC_Lm4ESD_lEENS6_INS7_ISA_SB_Lm3ESD_lEESH_SB_Lm4ESD_lEEiiii,"axG",@progbits,_ZN2at6native12_GLOBAL__N_132replication_pad_forward_kernel2dIfEEvN5torch10headeronly6detail27GenericPackedTensorAccessorINS5_14TensorAccessorIN3c108ArrayRefIlEEKT_Lm3ENS4_16DefaultPtrTraitsElEENS_6detail16IndexBoundsCheckILm4ElEESC_Lm4ESD_lEENS6_INS7_ISA_SB_Lm3ESD_lEESH_SB_Lm4ESD_lEEiiii,comdat
	.globl	_ZN2at6native12_GLOBAL__N_132replication_pad_forward_kernel2dIfEEvN5torch10headeronly6detail27GenericPackedTensorAccessorINS5_14TensorAccessorIN3c108ArrayRefIlEEKT_Lm3ENS4_16DefaultPtrTraitsElEENS_6detail16IndexBoundsCheckILm4ElEESC_Lm4ESD_lEENS6_INS7_ISA_SB_Lm3ESD_lEESH_SB_Lm4ESD_lEEiiii ; -- Begin function _ZN2at6native12_GLOBAL__N_132replication_pad_forward_kernel2dIfEEvN5torch10headeronly6detail27GenericPackedTensorAccessorINS5_14TensorAccessorIN3c108ArrayRefIlEEKT_Lm3ENS4_16DefaultPtrTraitsElEENS_6detail16IndexBoundsCheckILm4ElEESC_Lm4ESD_lEENS6_INS7_ISA_SB_Lm3ESD_lEESH_SB_Lm4ESD_lEEiiii
	.p2align	8
	.type	_ZN2at6native12_GLOBAL__N_132replication_pad_forward_kernel2dIfEEvN5torch10headeronly6detail27GenericPackedTensorAccessorINS5_14TensorAccessorIN3c108ArrayRefIlEEKT_Lm3ENS4_16DefaultPtrTraitsElEENS_6detail16IndexBoundsCheckILm4ElEESC_Lm4ESD_lEENS6_INS7_ISA_SB_Lm3ESD_lEESH_SB_Lm4ESD_lEEiiii,@function
_ZN2at6native12_GLOBAL__N_132replication_pad_forward_kernel2dIfEEvN5torch10headeronly6detail27GenericPackedTensorAccessorINS5_14TensorAccessorIN3c108ArrayRefIlEEKT_Lm3ENS4_16DefaultPtrTraitsElEENS_6detail16IndexBoundsCheckILm4ElEESC_Lm4ESD_lEENS6_INS7_ISA_SB_Lm3ESD_lEESH_SB_Lm4ESD_lEEiiii: ; @_ZN2at6native12_GLOBAL__N_132replication_pad_forward_kernel2dIfEEvN5torch10headeronly6detail27GenericPackedTensorAccessorINS5_14TensorAccessorIN3c108ArrayRefIlEEKT_Lm3ENS4_16DefaultPtrTraitsElEENS_6detail16IndexBoundsCheckILm4ElEESC_Lm4ESD_lEENS6_INS7_ISA_SB_Lm3ESD_lEESH_SB_Lm4ESD_lEEiiii
; %bb.0:
	s_load_dword s9, s[4:5], 0xac
	s_load_dwordx4 s[0:3], s[4:5], 0x60
	s_waitcnt lgkmcnt(0)
	s_and_b32 s9, s9, 0xffff
	s_mul_i32 s6, s6, s9
	v_add_u32_e32 v0, s6, v0
	s_mul_i32 s1, s2, s1
	s_mul_hi_u32 s6, s2, s0
	s_add_i32 s1, s6, s1
	s_mul_i32 s6, s3, s0
	v_ashrrev_i32_e32 v1, 31, v0
	s_add_i32 s1, s1, s6
	s_mul_i32 s0, s2, s0
	v_cmp_gt_i64_e32 vcc, s[0:1], v[0:1]
	s_and_saveexec_b64 s[0:1], vcc
	s_cbranch_execz .LBB35_6
; %bb.1:
	v_or_b32_e32 v3, s3, v1
	v_mov_b32_e32 v2, 0
	v_cmp_ne_u64_e32 vcc, 0, v[2:3]
                                        ; implicit-def: $vgpr2_vgpr3
	s_and_saveexec_b64 s[0:1], vcc
	s_xor_b64 s[10:11], exec, s[0:1]
	s_cbranch_execz .LBB35_3
; %bb.2:
	s_ashr_i32 s12, s3, 31
	s_add_u32 s0, s2, s12
	s_mov_b32 s13, s12
	s_addc_u32 s1, s3, s12
	s_xor_b64 s[14:15], s[0:1], s[12:13]
	v_cvt_f32_u32_e32 v2, s14
	v_cvt_f32_u32_e32 v3, s15
	s_sub_u32 s6, 0, s14
	s_subb_u32 s9, 0, s15
	v_ashrrev_i32_e32 v6, 31, v1
	v_madmk_f32 v2, v3, 0x4f800000, v2
	v_rcp_f32_e32 v2, v2
	v_mul_f32_e32 v2, 0x5f7ffffc, v2
	v_mul_f32_e32 v3, 0x2f800000, v2
	v_trunc_f32_e32 v3, v3
	v_madmk_f32 v2, v3, 0xcf800000, v2
	v_cvt_u32_f32_e32 v3, v3
	v_cvt_u32_f32_e32 v2, v2
	v_readfirstlane_b32 s13, v3
	v_readfirstlane_b32 s0, v2
	s_mul_i32 s1, s6, s13
	s_mul_hi_u32 s17, s6, s0
	s_mul_i32 s16, s9, s0
	s_add_i32 s1, s17, s1
	s_add_i32 s1, s1, s16
	s_mul_i32 s18, s6, s0
	s_mul_i32 s17, s0, s1
	s_mul_hi_u32 s19, s0, s18
	s_mul_hi_u32 s16, s0, s1
	s_add_u32 s17, s19, s17
	s_addc_u32 s16, 0, s16
	s_mul_hi_u32 s20, s13, s18
	s_mul_i32 s18, s13, s18
	s_add_u32 s17, s17, s18
	s_mul_hi_u32 s19, s13, s1
	s_addc_u32 s16, s16, s20
	s_addc_u32 s17, s19, 0
	s_mul_i32 s1, s13, s1
	s_add_u32 s1, s16, s1
	s_addc_u32 s16, 0, s17
	s_add_u32 s17, s0, s1
	s_cselect_b64 s[0:1], -1, 0
	s_cmp_lg_u64 s[0:1], 0
	s_addc_u32 s13, s13, s16
	s_mul_i32 s0, s6, s13
	s_mul_hi_u32 s1, s6, s17
	s_add_i32 s0, s1, s0
	s_mul_i32 s9, s9, s17
	s_add_i32 s0, s0, s9
	s_mul_i32 s6, s6, s17
	s_mul_hi_u32 s9, s13, s6
	s_mul_i32 s16, s13, s6
	s_mul_i32 s19, s17, s0
	s_mul_hi_u32 s6, s17, s6
	s_mul_hi_u32 s18, s17, s0
	s_add_u32 s6, s6, s19
	s_addc_u32 s18, 0, s18
	s_add_u32 s6, s6, s16
	s_mul_hi_u32 s1, s13, s0
	s_addc_u32 s6, s18, s9
	s_addc_u32 s1, s1, 0
	s_mul_i32 s0, s13, s0
	s_add_u32 s0, s6, s0
	s_addc_u32 s6, 0, s1
	s_add_u32 s9, s17, s0
	s_cselect_b64 s[0:1], -1, 0
	s_cmp_lg_u64 s[0:1], 0
	v_add_co_u32_e32 v2, vcc, v0, v6
	s_addc_u32 s6, s13, s6
	v_xor_b32_e32 v7, v2, v6
	v_mad_u64_u32 v[2:3], s[0:1], v7, s6, 0
	v_mul_hi_u32 v5, v7, s9
	v_addc_co_u32_e32 v4, vcc, v1, v6, vcc
	v_xor_b32_e32 v8, v4, v6
	v_add_co_u32_e32 v9, vcc, v5, v2
	v_addc_co_u32_e32 v10, vcc, 0, v3, vcc
	v_mad_u64_u32 v[2:3], s[0:1], v8, s9, 0
	v_mad_u64_u32 v[4:5], s[0:1], v8, s6, 0
	v_add_co_u32_e32 v2, vcc, v9, v2
	v_addc_co_u32_e32 v2, vcc, v10, v3, vcc
	v_addc_co_u32_e32 v3, vcc, 0, v5, vcc
	v_add_co_u32_e32 v4, vcc, v2, v4
	v_addc_co_u32_e32 v5, vcc, 0, v3, vcc
	v_mul_lo_u32 v9, s15, v4
	v_mul_lo_u32 v10, s14, v5
	v_mad_u64_u32 v[2:3], s[0:1], s14, v4, 0
	v_add3_u32 v3, v3, v10, v9
	v_sub_u32_e32 v9, v8, v3
	v_mov_b32_e32 v10, s15
	v_sub_co_u32_e32 v2, vcc, v7, v2
	v_subb_co_u32_e64 v7, s[0:1], v9, v10, vcc
	v_subrev_co_u32_e64 v9, s[0:1], s14, v2
	v_subbrev_co_u32_e64 v7, s[0:1], 0, v7, s[0:1]
	v_cmp_le_u32_e64 s[0:1], s15, v7
	v_cndmask_b32_e64 v10, 0, -1, s[0:1]
	v_cmp_le_u32_e64 s[0:1], s14, v9
	v_cndmask_b32_e64 v9, 0, -1, s[0:1]
	v_cmp_eq_u32_e64 s[0:1], s15, v7
	v_cndmask_b32_e64 v7, v10, v9, s[0:1]
	v_add_co_u32_e64 v9, s[0:1], 2, v4
	v_subb_co_u32_e32 v3, vcc, v8, v3, vcc
	v_addc_co_u32_e64 v10, s[0:1], 0, v5, s[0:1]
	v_cmp_le_u32_e32 vcc, s15, v3
	v_add_co_u32_e64 v11, s[0:1], 1, v4
	v_cndmask_b32_e64 v8, 0, -1, vcc
	v_cmp_le_u32_e32 vcc, s14, v2
	v_addc_co_u32_e64 v12, s[0:1], 0, v5, s[0:1]
	v_cndmask_b32_e64 v2, 0, -1, vcc
	v_cmp_eq_u32_e32 vcc, s15, v3
	v_cmp_ne_u32_e64 s[0:1], 0, v7
	v_cndmask_b32_e32 v2, v8, v2, vcc
	v_cndmask_b32_e64 v7, v12, v10, s[0:1]
	v_cmp_ne_u32_e32 vcc, 0, v2
	v_cndmask_b32_e64 v3, v11, v9, s[0:1]
	v_cndmask_b32_e32 v2, v5, v7, vcc
	v_cndmask_b32_e32 v3, v4, v3, vcc
	v_xor_b32_e32 v4, s12, v6
	v_xor_b32_e32 v5, v2, v4
	;; [unrolled: 1-line block ×3, first 2 shown]
	v_sub_co_u32_e32 v2, vcc, v2, v4
	v_subb_co_u32_e32 v3, vcc, v5, v4, vcc
.LBB35_3:
	s_andn2_saveexec_b64 s[0:1], s[10:11]
	s_cbranch_execz .LBB35_5
; %bb.4:
	v_cvt_f32_u32_e32 v2, s2
	s_sub_i32 s6, 0, s2
	v_rcp_iflag_f32_e32 v2, v2
	v_mul_f32_e32 v2, 0x4f7ffffe, v2
	v_cvt_u32_f32_e32 v2, v2
	v_mul_lo_u32 v3, s6, v2
	v_mul_hi_u32 v3, v2, v3
	v_add_u32_e32 v2, v2, v3
	v_mul_hi_u32 v2, v0, v2
	v_mul_lo_u32 v3, v2, s2
	v_add_u32_e32 v4, 1, v2
	v_sub_u32_e32 v3, v0, v3
	v_subrev_u32_e32 v5, s2, v3
	v_cmp_le_u32_e32 vcc, s2, v3
	v_cndmask_b32_e32 v3, v3, v5, vcc
	v_cndmask_b32_e32 v2, v2, v4, vcc
	v_add_u32_e32 v4, 1, v2
	v_cmp_le_u32_e32 vcc, s2, v3
	v_cndmask_b32_e32 v2, v2, v4, vcc
	v_mov_b32_e32 v3, 0
.LBB35_5:
	s_or_b64 exec, exec, s[0:1]
	s_load_dwordx4 s[16:19], s[4:5], 0x90
	v_mul_lo_u32 v5, v3, s2
	v_mul_lo_u32 v6, v2, s3
	v_mad_u64_u32 v[3:4], s[0:1], v2, s2, 0
	s_waitcnt lgkmcnt(0)
	s_add_i32 s19, s19, s8
	s_load_dwordx8 s[8:15], s[4:5], 0x18
	v_add3_u32 v4, v4, v6, v5
	v_sub_co_u32_e32 v5, vcc, v0, v3
	s_sub_i32 s0, 0, s17
	s_waitcnt lgkmcnt(0)
	s_add_i32 s10, s17, s10
	s_max_i32 s20, s0, 0
	s_max_i32 s22, s17, 0
	v_max_i32_e32 v0, s17, v5
	s_add_i32 s10, s10, -1
	s_sub_i32 s0, 0, s16
	v_min_i32_e32 v0, s10, v0
	s_sub_i32 s10, s20, s22
	s_add_i32 s8, s16, s8
	s_max_i32 s21, s0, 0
	s_max_i32 s9, s16, 0
	v_add_u32_e32 v3, s10, v0
	v_max_i32_e32 v0, s16, v2
	s_add_i32 s8, s8, -1
	v_min_i32_e32 v0, s8, v0
	s_sub_i32 s8, s21, s9
	s_ashr_i32 s16, s19, 31
	s_add_i32 s18, s18, s7
	s_load_dwordx2 s[6:7], s[4:5], 0x0
	s_load_dwordx4 s[0:3], s[4:5], 0x38
	v_add_u32_e32 v0, s8, v0
	s_mul_i32 s8, s12, s16
	s_mul_hi_u32 s9, s12, s19
	s_add_i32 s8, s9, s8
	s_mul_i32 s9, s13, s19
	s_add_i32 s9, s8, s9
	s_mul_i32 s8, s12, s19
	s_lshl_b64 s[8:9], s[8:9], 2
	s_waitcnt lgkmcnt(0)
	s_add_u32 s8, s6, s8
	s_addc_u32 s9, s7, s9
	s_ashr_i32 s17, s18, 31
	v_subb_co_u32_e32 v6, vcc, v1, v4, vcc
	s_mul_i32 s6, s14, s17
	s_mul_hi_u32 s7, s14, s18
	v_ashrrev_i32_e32 v1, 31, v0
	s_add_i32 s6, s7, s6
	s_mul_i32 s7, s15, s18
	v_mul_lo_u32 v4, s0, v1
	v_mul_lo_u32 v7, s1, v0
	v_mad_u64_u32 v[0:1], s[0:1], s0, v0, 0
	s_add_i32 s7, s6, s7
	s_mul_i32 s6, s14, s18
	s_lshl_b64 s[0:1], s[6:7], 2
	s_add_u32 s6, s8, s0
	s_addc_u32 s0, s9, s1
	v_add3_u32 v1, v1, v4, v7
	v_ashrrev_i32_e32 v4, 31, v3
	v_mov_b32_e32 v7, s0
	v_mul_lo_u32 v8, s2, v4
	v_mul_lo_u32 v9, s3, v3
	v_mad_u64_u32 v[3:4], s[0:1], s2, v3, 0
	v_lshlrev_b64 v[0:1], 2, v[0:1]
	v_add_co_u32_e32 v10, vcc, s6, v0
	v_add3_u32 v4, v4, v8, v9
	v_addc_co_u32_e32 v7, vcc, v7, v1, vcc
	v_lshlrev_b64 v[0:1], 2, v[3:4]
	v_add_co_u32_e32 v0, vcc, v10, v0
	v_addc_co_u32_e32 v1, vcc, v7, v1, vcc
	global_load_dword v4, v[0:1], off
	s_load_dwordx8 s[8:15], s[4:5], 0x70
	s_load_dwordx2 s[0:1], s[4:5], 0x48
	v_ashrrev_i32_e32 v0, 31, v2
	s_waitcnt lgkmcnt(0)
	s_mul_i32 s2, s8, s16
	s_mul_hi_u32 s3, s8, s19
	s_add_i32 s2, s3, s2
	s_mul_i32 s3, s9, s19
	s_add_i32 s3, s2, s3
	s_mul_i32 s2, s8, s19
	s_lshl_b64 s[2:3], s[2:3], 2
	s_add_u32 s4, s0, s2
	s_addc_u32 s5, s1, s3
	s_mul_i32 s0, s10, s17
	s_mul_hi_u32 s1, s10, s18
	s_add_i32 s0, s1, s0
	s_mul_i32 s1, s11, s18
	s_add_i32 s1, s0, s1
	s_mul_i32 s0, s10, s18
	v_mul_lo_u32 v3, s13, v2
	v_mul_lo_u32 v7, s12, v0
	v_mad_u64_u32 v[0:1], s[2:3], s12, v2, 0
	s_lshl_b64 s[0:1], s[0:1], 2
	s_add_u32 s2, s4, s0
	s_addc_u32 s0, s5, s1
	v_add3_u32 v1, v1, v7, v3
	v_mov_b32_e32 v7, s0
	v_mul_lo_u32 v8, s15, v5
	v_mul_lo_u32 v6, s14, v6
	v_mad_u64_u32 v[2:3], s[0:1], s14, v5, 0
	v_lshlrev_b64 v[0:1], 2, v[0:1]
	v_add_co_u32_e32 v5, vcc, s2, v0
	v_add3_u32 v3, v3, v6, v8
	v_addc_co_u32_e32 v7, vcc, v7, v1, vcc
	v_lshlrev_b64 v[0:1], 2, v[2:3]
	v_add_co_u32_e32 v0, vcc, v5, v0
	v_addc_co_u32_e32 v1, vcc, v7, v1, vcc
	s_waitcnt vmcnt(0)
	global_store_dword v[0:1], v4, off
.LBB35_6:
	s_endpgm
	.section	.rodata,"a",@progbits
	.p2align	6, 0x0
	.amdhsa_kernel _ZN2at6native12_GLOBAL__N_132replication_pad_forward_kernel2dIfEEvN5torch10headeronly6detail27GenericPackedTensorAccessorINS5_14TensorAccessorIN3c108ArrayRefIlEEKT_Lm3ENS4_16DefaultPtrTraitsElEENS_6detail16IndexBoundsCheckILm4ElEESC_Lm4ESD_lEENS6_INS7_ISA_SB_Lm3ESD_lEESH_SB_Lm4ESD_lEEiiii
		.amdhsa_group_segment_fixed_size 0
		.amdhsa_private_segment_fixed_size 0
		.amdhsa_kernarg_size 416
		.amdhsa_user_sgpr_count 6
		.amdhsa_user_sgpr_private_segment_buffer 1
		.amdhsa_user_sgpr_dispatch_ptr 0
		.amdhsa_user_sgpr_queue_ptr 0
		.amdhsa_user_sgpr_kernarg_segment_ptr 1
		.amdhsa_user_sgpr_dispatch_id 0
		.amdhsa_user_sgpr_flat_scratch_init 0
		.amdhsa_user_sgpr_private_segment_size 0
		.amdhsa_uses_dynamic_stack 0
		.amdhsa_system_sgpr_private_segment_wavefront_offset 0
		.amdhsa_system_sgpr_workgroup_id_x 1
		.amdhsa_system_sgpr_workgroup_id_y 1
		.amdhsa_system_sgpr_workgroup_id_z 1
		.amdhsa_system_sgpr_workgroup_info 0
		.amdhsa_system_vgpr_workitem_id 0
		.amdhsa_next_free_vgpr 13
		.amdhsa_next_free_sgpr 23
		.amdhsa_reserve_vcc 1
		.amdhsa_reserve_flat_scratch 0
		.amdhsa_float_round_mode_32 0
		.amdhsa_float_round_mode_16_64 0
		.amdhsa_float_denorm_mode_32 3
		.amdhsa_float_denorm_mode_16_64 3
		.amdhsa_dx10_clamp 1
		.amdhsa_ieee_mode 1
		.amdhsa_fp16_overflow 0
		.amdhsa_exception_fp_ieee_invalid_op 0
		.amdhsa_exception_fp_denorm_src 0
		.amdhsa_exception_fp_ieee_div_zero 0
		.amdhsa_exception_fp_ieee_overflow 0
		.amdhsa_exception_fp_ieee_underflow 0
		.amdhsa_exception_fp_ieee_inexact 0
		.amdhsa_exception_int_div_zero 0
	.end_amdhsa_kernel
	.section	.text._ZN2at6native12_GLOBAL__N_132replication_pad_forward_kernel2dIfEEvN5torch10headeronly6detail27GenericPackedTensorAccessorINS5_14TensorAccessorIN3c108ArrayRefIlEEKT_Lm3ENS4_16DefaultPtrTraitsElEENS_6detail16IndexBoundsCheckILm4ElEESC_Lm4ESD_lEENS6_INS7_ISA_SB_Lm3ESD_lEESH_SB_Lm4ESD_lEEiiii,"axG",@progbits,_ZN2at6native12_GLOBAL__N_132replication_pad_forward_kernel2dIfEEvN5torch10headeronly6detail27GenericPackedTensorAccessorINS5_14TensorAccessorIN3c108ArrayRefIlEEKT_Lm3ENS4_16DefaultPtrTraitsElEENS_6detail16IndexBoundsCheckILm4ElEESC_Lm4ESD_lEENS6_INS7_ISA_SB_Lm3ESD_lEESH_SB_Lm4ESD_lEEiiii,comdat
.Lfunc_end35:
	.size	_ZN2at6native12_GLOBAL__N_132replication_pad_forward_kernel2dIfEEvN5torch10headeronly6detail27GenericPackedTensorAccessorINS5_14TensorAccessorIN3c108ArrayRefIlEEKT_Lm3ENS4_16DefaultPtrTraitsElEENS_6detail16IndexBoundsCheckILm4ElEESC_Lm4ESD_lEENS6_INS7_ISA_SB_Lm3ESD_lEESH_SB_Lm4ESD_lEEiiii, .Lfunc_end35-_ZN2at6native12_GLOBAL__N_132replication_pad_forward_kernel2dIfEEvN5torch10headeronly6detail27GenericPackedTensorAccessorINS5_14TensorAccessorIN3c108ArrayRefIlEEKT_Lm3ENS4_16DefaultPtrTraitsElEENS_6detail16IndexBoundsCheckILm4ElEESC_Lm4ESD_lEENS6_INS7_ISA_SB_Lm3ESD_lEESH_SB_Lm4ESD_lEEiiii
                                        ; -- End function
	.set _ZN2at6native12_GLOBAL__N_132replication_pad_forward_kernel2dIfEEvN5torch10headeronly6detail27GenericPackedTensorAccessorINS5_14TensorAccessorIN3c108ArrayRefIlEEKT_Lm3ENS4_16DefaultPtrTraitsElEENS_6detail16IndexBoundsCheckILm4ElEESC_Lm4ESD_lEENS6_INS7_ISA_SB_Lm3ESD_lEESH_SB_Lm4ESD_lEEiiii.num_vgpr, 13
	.set _ZN2at6native12_GLOBAL__N_132replication_pad_forward_kernel2dIfEEvN5torch10headeronly6detail27GenericPackedTensorAccessorINS5_14TensorAccessorIN3c108ArrayRefIlEEKT_Lm3ENS4_16DefaultPtrTraitsElEENS_6detail16IndexBoundsCheckILm4ElEESC_Lm4ESD_lEENS6_INS7_ISA_SB_Lm3ESD_lEESH_SB_Lm4ESD_lEEiiii.num_agpr, 0
	.set _ZN2at6native12_GLOBAL__N_132replication_pad_forward_kernel2dIfEEvN5torch10headeronly6detail27GenericPackedTensorAccessorINS5_14TensorAccessorIN3c108ArrayRefIlEEKT_Lm3ENS4_16DefaultPtrTraitsElEENS_6detail16IndexBoundsCheckILm4ElEESC_Lm4ESD_lEENS6_INS7_ISA_SB_Lm3ESD_lEESH_SB_Lm4ESD_lEEiiii.numbered_sgpr, 23
	.set _ZN2at6native12_GLOBAL__N_132replication_pad_forward_kernel2dIfEEvN5torch10headeronly6detail27GenericPackedTensorAccessorINS5_14TensorAccessorIN3c108ArrayRefIlEEKT_Lm3ENS4_16DefaultPtrTraitsElEENS_6detail16IndexBoundsCheckILm4ElEESC_Lm4ESD_lEENS6_INS7_ISA_SB_Lm3ESD_lEESH_SB_Lm4ESD_lEEiiii.num_named_barrier, 0
	.set _ZN2at6native12_GLOBAL__N_132replication_pad_forward_kernel2dIfEEvN5torch10headeronly6detail27GenericPackedTensorAccessorINS5_14TensorAccessorIN3c108ArrayRefIlEEKT_Lm3ENS4_16DefaultPtrTraitsElEENS_6detail16IndexBoundsCheckILm4ElEESC_Lm4ESD_lEENS6_INS7_ISA_SB_Lm3ESD_lEESH_SB_Lm4ESD_lEEiiii.private_seg_size, 0
	.set _ZN2at6native12_GLOBAL__N_132replication_pad_forward_kernel2dIfEEvN5torch10headeronly6detail27GenericPackedTensorAccessorINS5_14TensorAccessorIN3c108ArrayRefIlEEKT_Lm3ENS4_16DefaultPtrTraitsElEENS_6detail16IndexBoundsCheckILm4ElEESC_Lm4ESD_lEENS6_INS7_ISA_SB_Lm3ESD_lEESH_SB_Lm4ESD_lEEiiii.uses_vcc, 1
	.set _ZN2at6native12_GLOBAL__N_132replication_pad_forward_kernel2dIfEEvN5torch10headeronly6detail27GenericPackedTensorAccessorINS5_14TensorAccessorIN3c108ArrayRefIlEEKT_Lm3ENS4_16DefaultPtrTraitsElEENS_6detail16IndexBoundsCheckILm4ElEESC_Lm4ESD_lEENS6_INS7_ISA_SB_Lm3ESD_lEESH_SB_Lm4ESD_lEEiiii.uses_flat_scratch, 0
	.set _ZN2at6native12_GLOBAL__N_132replication_pad_forward_kernel2dIfEEvN5torch10headeronly6detail27GenericPackedTensorAccessorINS5_14TensorAccessorIN3c108ArrayRefIlEEKT_Lm3ENS4_16DefaultPtrTraitsElEENS_6detail16IndexBoundsCheckILm4ElEESC_Lm4ESD_lEENS6_INS7_ISA_SB_Lm3ESD_lEESH_SB_Lm4ESD_lEEiiii.has_dyn_sized_stack, 0
	.set _ZN2at6native12_GLOBAL__N_132replication_pad_forward_kernel2dIfEEvN5torch10headeronly6detail27GenericPackedTensorAccessorINS5_14TensorAccessorIN3c108ArrayRefIlEEKT_Lm3ENS4_16DefaultPtrTraitsElEENS_6detail16IndexBoundsCheckILm4ElEESC_Lm4ESD_lEENS6_INS7_ISA_SB_Lm3ESD_lEESH_SB_Lm4ESD_lEEiiii.has_recursion, 0
	.set _ZN2at6native12_GLOBAL__N_132replication_pad_forward_kernel2dIfEEvN5torch10headeronly6detail27GenericPackedTensorAccessorINS5_14TensorAccessorIN3c108ArrayRefIlEEKT_Lm3ENS4_16DefaultPtrTraitsElEENS_6detail16IndexBoundsCheckILm4ElEESC_Lm4ESD_lEENS6_INS7_ISA_SB_Lm3ESD_lEESH_SB_Lm4ESD_lEEiiii.has_indirect_call, 0
	.section	.AMDGPU.csdata,"",@progbits
; Kernel info:
; codeLenInByte = 1396
; TotalNumSgprs: 27
; NumVgprs: 13
; ScratchSize: 0
; MemoryBound: 0
; FloatMode: 240
; IeeeMode: 1
; LDSByteSize: 0 bytes/workgroup (compile time only)
; SGPRBlocks: 3
; VGPRBlocks: 3
; NumSGPRsForWavesPerEU: 27
; NumVGPRsForWavesPerEU: 13
; Occupancy: 10
; WaveLimiterHint : 1
; COMPUTE_PGM_RSRC2:SCRATCH_EN: 0
; COMPUTE_PGM_RSRC2:USER_SGPR: 6
; COMPUTE_PGM_RSRC2:TRAP_HANDLER: 0
; COMPUTE_PGM_RSRC2:TGID_X_EN: 1
; COMPUTE_PGM_RSRC2:TGID_Y_EN: 1
; COMPUTE_PGM_RSRC2:TGID_Z_EN: 1
; COMPUTE_PGM_RSRC2:TIDIG_COMP_CNT: 0
	.section	.text._ZN2at6native12_GLOBAL__N_132replication_pad_forward_kernel2dIN3c107complexIdEEEEvN5torch10headeronly6detail27GenericPackedTensorAccessorINS8_14TensorAccessorINS3_8ArrayRefIlEEKT_Lm3ENS7_16DefaultPtrTraitsElEENS_6detail16IndexBoundsCheckILm4ElEESE_Lm4ESF_lEENS9_INSA_ISC_SD_Lm3ESF_lEESJ_SD_Lm4ESF_lEEiiii,"axG",@progbits,_ZN2at6native12_GLOBAL__N_132replication_pad_forward_kernel2dIN3c107complexIdEEEEvN5torch10headeronly6detail27GenericPackedTensorAccessorINS8_14TensorAccessorINS3_8ArrayRefIlEEKT_Lm3ENS7_16DefaultPtrTraitsElEENS_6detail16IndexBoundsCheckILm4ElEESE_Lm4ESF_lEENS9_INSA_ISC_SD_Lm3ESF_lEESJ_SD_Lm4ESF_lEEiiii,comdat
	.globl	_ZN2at6native12_GLOBAL__N_132replication_pad_forward_kernel2dIN3c107complexIdEEEEvN5torch10headeronly6detail27GenericPackedTensorAccessorINS8_14TensorAccessorINS3_8ArrayRefIlEEKT_Lm3ENS7_16DefaultPtrTraitsElEENS_6detail16IndexBoundsCheckILm4ElEESE_Lm4ESF_lEENS9_INSA_ISC_SD_Lm3ESF_lEESJ_SD_Lm4ESF_lEEiiii ; -- Begin function _ZN2at6native12_GLOBAL__N_132replication_pad_forward_kernel2dIN3c107complexIdEEEEvN5torch10headeronly6detail27GenericPackedTensorAccessorINS8_14TensorAccessorINS3_8ArrayRefIlEEKT_Lm3ENS7_16DefaultPtrTraitsElEENS_6detail16IndexBoundsCheckILm4ElEESE_Lm4ESF_lEENS9_INSA_ISC_SD_Lm3ESF_lEESJ_SD_Lm4ESF_lEEiiii
	.p2align	8
	.type	_ZN2at6native12_GLOBAL__N_132replication_pad_forward_kernel2dIN3c107complexIdEEEEvN5torch10headeronly6detail27GenericPackedTensorAccessorINS8_14TensorAccessorINS3_8ArrayRefIlEEKT_Lm3ENS7_16DefaultPtrTraitsElEENS_6detail16IndexBoundsCheckILm4ElEESE_Lm4ESF_lEENS9_INSA_ISC_SD_Lm3ESF_lEESJ_SD_Lm4ESF_lEEiiii,@function
_ZN2at6native12_GLOBAL__N_132replication_pad_forward_kernel2dIN3c107complexIdEEEEvN5torch10headeronly6detail27GenericPackedTensorAccessorINS8_14TensorAccessorINS3_8ArrayRefIlEEKT_Lm3ENS7_16DefaultPtrTraitsElEENS_6detail16IndexBoundsCheckILm4ElEESE_Lm4ESF_lEENS9_INSA_ISC_SD_Lm3ESF_lEESJ_SD_Lm4ESF_lEEiiii: ; @_ZN2at6native12_GLOBAL__N_132replication_pad_forward_kernel2dIN3c107complexIdEEEEvN5torch10headeronly6detail27GenericPackedTensorAccessorINS8_14TensorAccessorINS3_8ArrayRefIlEEKT_Lm3ENS7_16DefaultPtrTraitsElEENS_6detail16IndexBoundsCheckILm4ElEESE_Lm4ESF_lEENS9_INSA_ISC_SD_Lm3ESF_lEESJ_SD_Lm4ESF_lEEiiii
; %bb.0:
	s_load_dword s9, s[4:5], 0xac
	s_load_dwordx4 s[0:3], s[4:5], 0x60
	s_waitcnt lgkmcnt(0)
	s_and_b32 s9, s9, 0xffff
	s_mul_i32 s6, s6, s9
	v_add_u32_e32 v0, s6, v0
	s_mul_i32 s1, s2, s1
	s_mul_hi_u32 s6, s2, s0
	s_add_i32 s1, s6, s1
	s_mul_i32 s6, s3, s0
	v_ashrrev_i32_e32 v1, 31, v0
	s_add_i32 s1, s1, s6
	s_mul_i32 s0, s2, s0
	v_cmp_gt_i64_e32 vcc, s[0:1], v[0:1]
	s_and_saveexec_b64 s[0:1], vcc
	s_cbranch_execz .LBB36_6
; %bb.1:
	v_or_b32_e32 v3, s3, v1
	v_mov_b32_e32 v2, 0
	v_cmp_ne_u64_e32 vcc, 0, v[2:3]
                                        ; implicit-def: $vgpr2_vgpr3
	s_and_saveexec_b64 s[0:1], vcc
	s_xor_b64 s[10:11], exec, s[0:1]
	s_cbranch_execz .LBB36_3
; %bb.2:
	s_ashr_i32 s12, s3, 31
	s_add_u32 s0, s2, s12
	s_mov_b32 s13, s12
	s_addc_u32 s1, s3, s12
	s_xor_b64 s[14:15], s[0:1], s[12:13]
	v_cvt_f32_u32_e32 v2, s14
	v_cvt_f32_u32_e32 v3, s15
	s_sub_u32 s6, 0, s14
	s_subb_u32 s9, 0, s15
	v_ashrrev_i32_e32 v6, 31, v1
	v_madmk_f32 v2, v3, 0x4f800000, v2
	v_rcp_f32_e32 v2, v2
	v_mul_f32_e32 v2, 0x5f7ffffc, v2
	v_mul_f32_e32 v3, 0x2f800000, v2
	v_trunc_f32_e32 v3, v3
	v_madmk_f32 v2, v3, 0xcf800000, v2
	v_cvt_u32_f32_e32 v3, v3
	v_cvt_u32_f32_e32 v2, v2
	v_readfirstlane_b32 s13, v3
	v_readfirstlane_b32 s0, v2
	s_mul_i32 s1, s6, s13
	s_mul_hi_u32 s17, s6, s0
	s_mul_i32 s16, s9, s0
	s_add_i32 s1, s17, s1
	s_add_i32 s1, s1, s16
	s_mul_i32 s18, s6, s0
	s_mul_i32 s17, s0, s1
	s_mul_hi_u32 s19, s0, s18
	s_mul_hi_u32 s16, s0, s1
	s_add_u32 s17, s19, s17
	s_addc_u32 s16, 0, s16
	s_mul_hi_u32 s20, s13, s18
	s_mul_i32 s18, s13, s18
	s_add_u32 s17, s17, s18
	s_mul_hi_u32 s19, s13, s1
	s_addc_u32 s16, s16, s20
	s_addc_u32 s17, s19, 0
	s_mul_i32 s1, s13, s1
	s_add_u32 s1, s16, s1
	s_addc_u32 s16, 0, s17
	s_add_u32 s17, s0, s1
	s_cselect_b64 s[0:1], -1, 0
	s_cmp_lg_u64 s[0:1], 0
	s_addc_u32 s13, s13, s16
	s_mul_i32 s0, s6, s13
	s_mul_hi_u32 s1, s6, s17
	s_add_i32 s0, s1, s0
	s_mul_i32 s9, s9, s17
	s_add_i32 s0, s0, s9
	s_mul_i32 s6, s6, s17
	s_mul_hi_u32 s9, s13, s6
	s_mul_i32 s16, s13, s6
	s_mul_i32 s19, s17, s0
	s_mul_hi_u32 s6, s17, s6
	s_mul_hi_u32 s18, s17, s0
	s_add_u32 s6, s6, s19
	s_addc_u32 s18, 0, s18
	s_add_u32 s6, s6, s16
	s_mul_hi_u32 s1, s13, s0
	s_addc_u32 s6, s18, s9
	s_addc_u32 s1, s1, 0
	s_mul_i32 s0, s13, s0
	s_add_u32 s0, s6, s0
	s_addc_u32 s6, 0, s1
	s_add_u32 s9, s17, s0
	s_cselect_b64 s[0:1], -1, 0
	s_cmp_lg_u64 s[0:1], 0
	v_add_co_u32_e32 v2, vcc, v0, v6
	s_addc_u32 s6, s13, s6
	v_xor_b32_e32 v7, v2, v6
	v_mad_u64_u32 v[2:3], s[0:1], v7, s6, 0
	v_mul_hi_u32 v5, v7, s9
	v_addc_co_u32_e32 v4, vcc, v1, v6, vcc
	v_xor_b32_e32 v8, v4, v6
	v_add_co_u32_e32 v9, vcc, v5, v2
	v_addc_co_u32_e32 v10, vcc, 0, v3, vcc
	v_mad_u64_u32 v[2:3], s[0:1], v8, s9, 0
	v_mad_u64_u32 v[4:5], s[0:1], v8, s6, 0
	v_add_co_u32_e32 v2, vcc, v9, v2
	v_addc_co_u32_e32 v2, vcc, v10, v3, vcc
	v_addc_co_u32_e32 v3, vcc, 0, v5, vcc
	v_add_co_u32_e32 v4, vcc, v2, v4
	v_addc_co_u32_e32 v5, vcc, 0, v3, vcc
	v_mul_lo_u32 v9, s15, v4
	v_mul_lo_u32 v10, s14, v5
	v_mad_u64_u32 v[2:3], s[0:1], s14, v4, 0
	v_add3_u32 v3, v3, v10, v9
	v_sub_u32_e32 v9, v8, v3
	v_mov_b32_e32 v10, s15
	v_sub_co_u32_e32 v2, vcc, v7, v2
	v_subb_co_u32_e64 v7, s[0:1], v9, v10, vcc
	v_subrev_co_u32_e64 v9, s[0:1], s14, v2
	v_subbrev_co_u32_e64 v7, s[0:1], 0, v7, s[0:1]
	v_cmp_le_u32_e64 s[0:1], s15, v7
	v_cndmask_b32_e64 v10, 0, -1, s[0:1]
	v_cmp_le_u32_e64 s[0:1], s14, v9
	v_cndmask_b32_e64 v9, 0, -1, s[0:1]
	v_cmp_eq_u32_e64 s[0:1], s15, v7
	v_cndmask_b32_e64 v7, v10, v9, s[0:1]
	v_add_co_u32_e64 v9, s[0:1], 2, v4
	v_subb_co_u32_e32 v3, vcc, v8, v3, vcc
	v_addc_co_u32_e64 v10, s[0:1], 0, v5, s[0:1]
	v_cmp_le_u32_e32 vcc, s15, v3
	v_add_co_u32_e64 v11, s[0:1], 1, v4
	v_cndmask_b32_e64 v8, 0, -1, vcc
	v_cmp_le_u32_e32 vcc, s14, v2
	v_addc_co_u32_e64 v12, s[0:1], 0, v5, s[0:1]
	v_cndmask_b32_e64 v2, 0, -1, vcc
	v_cmp_eq_u32_e32 vcc, s15, v3
	v_cmp_ne_u32_e64 s[0:1], 0, v7
	v_cndmask_b32_e32 v2, v8, v2, vcc
	v_cndmask_b32_e64 v7, v12, v10, s[0:1]
	v_cmp_ne_u32_e32 vcc, 0, v2
	v_cndmask_b32_e64 v3, v11, v9, s[0:1]
	v_cndmask_b32_e32 v2, v5, v7, vcc
	v_cndmask_b32_e32 v3, v4, v3, vcc
	v_xor_b32_e32 v4, s12, v6
	v_xor_b32_e32 v5, v2, v4
	;; [unrolled: 1-line block ×3, first 2 shown]
	v_sub_co_u32_e32 v2, vcc, v2, v4
	v_subb_co_u32_e32 v3, vcc, v5, v4, vcc
.LBB36_3:
	s_andn2_saveexec_b64 s[0:1], s[10:11]
	s_cbranch_execz .LBB36_5
; %bb.4:
	v_cvt_f32_u32_e32 v2, s2
	s_sub_i32 s6, 0, s2
	v_rcp_iflag_f32_e32 v2, v2
	v_mul_f32_e32 v2, 0x4f7ffffe, v2
	v_cvt_u32_f32_e32 v2, v2
	v_mul_lo_u32 v3, s6, v2
	v_mul_hi_u32 v3, v2, v3
	v_add_u32_e32 v2, v2, v3
	v_mul_hi_u32 v2, v0, v2
	v_mul_lo_u32 v3, v2, s2
	v_add_u32_e32 v4, 1, v2
	v_sub_u32_e32 v3, v0, v3
	v_subrev_u32_e32 v5, s2, v3
	v_cmp_le_u32_e32 vcc, s2, v3
	v_cndmask_b32_e32 v3, v3, v5, vcc
	v_cndmask_b32_e32 v2, v2, v4, vcc
	v_add_u32_e32 v4, 1, v2
	v_cmp_le_u32_e32 vcc, s2, v3
	v_cndmask_b32_e32 v2, v2, v4, vcc
	v_mov_b32_e32 v3, 0
.LBB36_5:
	s_or_b64 exec, exec, s[0:1]
	s_load_dwordx4 s[16:19], s[4:5], 0x90
	v_mul_lo_u32 v5, v3, s2
	v_mad_u64_u32 v[3:4], s[0:1], v2, s2, 0
	v_mul_lo_u32 v6, v2, s3
	s_waitcnt lgkmcnt(0)
	s_add_i32 s19, s19, s8
	s_load_dwordx8 s[8:15], s[4:5], 0x18
	v_sub_co_u32_e32 v0, vcc, v0, v3
	s_sub_i32 s0, 0, s17
	s_max_i32 s20, s0, 0
	s_waitcnt lgkmcnt(0)
	s_add_i32 s10, s17, s10
	s_max_i32 s22, s17, 0
	v_max_i32_e32 v3, s17, v0
	s_add_i32 s10, s10, -1
	s_sub_i32 s0, 0, s16
	v_min_i32_e32 v3, s10, v3
	s_sub_i32 s10, s20, s22
	s_add_i32 s8, s16, s8
	v_add3_u32 v4, v4, v6, v5
	s_max_i32 s21, s0, 0
	s_max_i32 s9, s16, 0
	v_add_u32_e32 v5, s10, v3
	v_max_i32_e32 v3, s16, v2
	s_add_i32 s8, s8, -1
	v_min_i32_e32 v3, s8, v3
	s_sub_i32 s8, s21, s9
	s_ashr_i32 s16, s19, 31
	s_add_i32 s18, s18, s7
	s_load_dwordx2 s[6:7], s[4:5], 0x0
	s_load_dwordx4 s[0:3], s[4:5], 0x38
	v_add_u32_e32 v3, s8, v3
	s_mul_i32 s8, s12, s16
	s_mul_hi_u32 s9, s12, s19
	s_add_i32 s8, s9, s8
	s_mul_i32 s9, s13, s19
	s_add_i32 s9, s8, s9
	s_mul_i32 s8, s12, s19
	s_lshl_b64 s[8:9], s[8:9], 4
	s_waitcnt lgkmcnt(0)
	s_add_u32 s8, s6, s8
	s_addc_u32 s9, s7, s9
	s_ashr_i32 s17, s18, 31
	v_subb_co_u32_e32 v1, vcc, v1, v4, vcc
	s_mul_i32 s6, s14, s17
	s_mul_hi_u32 s7, s14, s18
	v_ashrrev_i32_e32 v4, 31, v3
	s_add_i32 s6, s7, s6
	s_mul_i32 s7, s15, s18
	v_mul_lo_u32 v6, s0, v4
	v_mul_lo_u32 v7, s1, v3
	v_mad_u64_u32 v[3:4], s[0:1], s0, v3, 0
	s_add_i32 s7, s6, s7
	s_mul_i32 s6, s14, s18
	s_lshl_b64 s[0:1], s[6:7], 4
	s_add_u32 s6, s8, s0
	s_addc_u32 s0, s9, s1
	v_add3_u32 v4, v4, v6, v7
	v_ashrrev_i32_e32 v6, 31, v5
	v_mov_b32_e32 v7, s0
	v_mul_lo_u32 v8, s2, v6
	v_mul_lo_u32 v9, s3, v5
	v_mad_u64_u32 v[5:6], s[0:1], s2, v5, 0
	v_lshlrev_b64 v[3:4], 4, v[3:4]
	v_add_co_u32_e32 v10, vcc, s6, v3
	v_add3_u32 v6, v6, v8, v9
	v_addc_co_u32_e32 v7, vcc, v7, v4, vcc
	v_lshlrev_b64 v[3:4], 4, v[5:6]
	v_add_co_u32_e32 v3, vcc, v10, v3
	v_addc_co_u32_e32 v4, vcc, v7, v4, vcc
	global_load_dwordx4 v[3:6], v[3:4], off
	s_load_dwordx8 s[8:15], s[4:5], 0x70
	s_load_dwordx2 s[0:1], s[4:5], 0x48
	v_ashrrev_i32_e32 v7, 31, v2
	s_waitcnt lgkmcnt(0)
	s_mul_i32 s2, s8, s16
	s_mul_hi_u32 s3, s8, s19
	s_add_i32 s2, s3, s2
	s_mul_i32 s3, s9, s19
	s_add_i32 s3, s2, s3
	s_mul_i32 s2, s8, s19
	s_lshl_b64 s[2:3], s[2:3], 4
	s_add_u32 s4, s0, s2
	s_addc_u32 s5, s1, s3
	s_mul_i32 s0, s10, s17
	s_mul_hi_u32 s1, s10, s18
	s_add_i32 s0, s1, s0
	s_mul_i32 s1, s11, s18
	s_add_i32 s1, s0, s1
	s_mul_i32 s0, s10, s18
	v_mul_lo_u32 v9, s13, v2
	v_mul_lo_u32 v10, s12, v7
	v_mad_u64_u32 v[7:8], s[2:3], s12, v2, 0
	s_lshl_b64 s[0:1], s[0:1], 4
	s_add_u32 s2, s4, s0
	s_addc_u32 s0, s5, s1
	v_add3_u32 v8, v8, v10, v9
	v_mov_b32_e32 v2, s0
	v_mul_lo_u32 v9, s15, v0
	v_mul_lo_u32 v10, s14, v1
	v_mad_u64_u32 v[0:1], s[0:1], s14, v0, 0
	v_lshlrev_b64 v[7:8], 4, v[7:8]
	v_add3_u32 v1, v1, v10, v9
	v_add_co_u32_e32 v7, vcc, s2, v7
	v_lshlrev_b64 v[0:1], 4, v[0:1]
	v_addc_co_u32_e32 v2, vcc, v2, v8, vcc
	v_add_co_u32_e32 v0, vcc, v7, v0
	v_addc_co_u32_e32 v1, vcc, v2, v1, vcc
	s_waitcnt vmcnt(0)
	global_store_dwordx4 v[0:1], v[3:6], off
.LBB36_6:
	s_endpgm
	.section	.rodata,"a",@progbits
	.p2align	6, 0x0
	.amdhsa_kernel _ZN2at6native12_GLOBAL__N_132replication_pad_forward_kernel2dIN3c107complexIdEEEEvN5torch10headeronly6detail27GenericPackedTensorAccessorINS8_14TensorAccessorINS3_8ArrayRefIlEEKT_Lm3ENS7_16DefaultPtrTraitsElEENS_6detail16IndexBoundsCheckILm4ElEESE_Lm4ESF_lEENS9_INSA_ISC_SD_Lm3ESF_lEESJ_SD_Lm4ESF_lEEiiii
		.amdhsa_group_segment_fixed_size 0
		.amdhsa_private_segment_fixed_size 0
		.amdhsa_kernarg_size 416
		.amdhsa_user_sgpr_count 6
		.amdhsa_user_sgpr_private_segment_buffer 1
		.amdhsa_user_sgpr_dispatch_ptr 0
		.amdhsa_user_sgpr_queue_ptr 0
		.amdhsa_user_sgpr_kernarg_segment_ptr 1
		.amdhsa_user_sgpr_dispatch_id 0
		.amdhsa_user_sgpr_flat_scratch_init 0
		.amdhsa_user_sgpr_private_segment_size 0
		.amdhsa_uses_dynamic_stack 0
		.amdhsa_system_sgpr_private_segment_wavefront_offset 0
		.amdhsa_system_sgpr_workgroup_id_x 1
		.amdhsa_system_sgpr_workgroup_id_y 1
		.amdhsa_system_sgpr_workgroup_id_z 1
		.amdhsa_system_sgpr_workgroup_info 0
		.amdhsa_system_vgpr_workitem_id 0
		.amdhsa_next_free_vgpr 13
		.amdhsa_next_free_sgpr 23
		.amdhsa_reserve_vcc 1
		.amdhsa_reserve_flat_scratch 0
		.amdhsa_float_round_mode_32 0
		.amdhsa_float_round_mode_16_64 0
		.amdhsa_float_denorm_mode_32 3
		.amdhsa_float_denorm_mode_16_64 3
		.amdhsa_dx10_clamp 1
		.amdhsa_ieee_mode 1
		.amdhsa_fp16_overflow 0
		.amdhsa_exception_fp_ieee_invalid_op 0
		.amdhsa_exception_fp_denorm_src 0
		.amdhsa_exception_fp_ieee_div_zero 0
		.amdhsa_exception_fp_ieee_overflow 0
		.amdhsa_exception_fp_ieee_underflow 0
		.amdhsa_exception_fp_ieee_inexact 0
		.amdhsa_exception_int_div_zero 0
	.end_amdhsa_kernel
	.section	.text._ZN2at6native12_GLOBAL__N_132replication_pad_forward_kernel2dIN3c107complexIdEEEEvN5torch10headeronly6detail27GenericPackedTensorAccessorINS8_14TensorAccessorINS3_8ArrayRefIlEEKT_Lm3ENS7_16DefaultPtrTraitsElEENS_6detail16IndexBoundsCheckILm4ElEESE_Lm4ESF_lEENS9_INSA_ISC_SD_Lm3ESF_lEESJ_SD_Lm4ESF_lEEiiii,"axG",@progbits,_ZN2at6native12_GLOBAL__N_132replication_pad_forward_kernel2dIN3c107complexIdEEEEvN5torch10headeronly6detail27GenericPackedTensorAccessorINS8_14TensorAccessorINS3_8ArrayRefIlEEKT_Lm3ENS7_16DefaultPtrTraitsElEENS_6detail16IndexBoundsCheckILm4ElEESE_Lm4ESF_lEENS9_INSA_ISC_SD_Lm3ESF_lEESJ_SD_Lm4ESF_lEEiiii,comdat
.Lfunc_end36:
	.size	_ZN2at6native12_GLOBAL__N_132replication_pad_forward_kernel2dIN3c107complexIdEEEEvN5torch10headeronly6detail27GenericPackedTensorAccessorINS8_14TensorAccessorINS3_8ArrayRefIlEEKT_Lm3ENS7_16DefaultPtrTraitsElEENS_6detail16IndexBoundsCheckILm4ElEESE_Lm4ESF_lEENS9_INSA_ISC_SD_Lm3ESF_lEESJ_SD_Lm4ESF_lEEiiii, .Lfunc_end36-_ZN2at6native12_GLOBAL__N_132replication_pad_forward_kernel2dIN3c107complexIdEEEEvN5torch10headeronly6detail27GenericPackedTensorAccessorINS8_14TensorAccessorINS3_8ArrayRefIlEEKT_Lm3ENS7_16DefaultPtrTraitsElEENS_6detail16IndexBoundsCheckILm4ElEESE_Lm4ESF_lEENS9_INSA_ISC_SD_Lm3ESF_lEESJ_SD_Lm4ESF_lEEiiii
                                        ; -- End function
	.set _ZN2at6native12_GLOBAL__N_132replication_pad_forward_kernel2dIN3c107complexIdEEEEvN5torch10headeronly6detail27GenericPackedTensorAccessorINS8_14TensorAccessorINS3_8ArrayRefIlEEKT_Lm3ENS7_16DefaultPtrTraitsElEENS_6detail16IndexBoundsCheckILm4ElEESE_Lm4ESF_lEENS9_INSA_ISC_SD_Lm3ESF_lEESJ_SD_Lm4ESF_lEEiiii.num_vgpr, 13
	.set _ZN2at6native12_GLOBAL__N_132replication_pad_forward_kernel2dIN3c107complexIdEEEEvN5torch10headeronly6detail27GenericPackedTensorAccessorINS8_14TensorAccessorINS3_8ArrayRefIlEEKT_Lm3ENS7_16DefaultPtrTraitsElEENS_6detail16IndexBoundsCheckILm4ElEESE_Lm4ESF_lEENS9_INSA_ISC_SD_Lm3ESF_lEESJ_SD_Lm4ESF_lEEiiii.num_agpr, 0
	.set _ZN2at6native12_GLOBAL__N_132replication_pad_forward_kernel2dIN3c107complexIdEEEEvN5torch10headeronly6detail27GenericPackedTensorAccessorINS8_14TensorAccessorINS3_8ArrayRefIlEEKT_Lm3ENS7_16DefaultPtrTraitsElEENS_6detail16IndexBoundsCheckILm4ElEESE_Lm4ESF_lEENS9_INSA_ISC_SD_Lm3ESF_lEESJ_SD_Lm4ESF_lEEiiii.numbered_sgpr, 23
	.set _ZN2at6native12_GLOBAL__N_132replication_pad_forward_kernel2dIN3c107complexIdEEEEvN5torch10headeronly6detail27GenericPackedTensorAccessorINS8_14TensorAccessorINS3_8ArrayRefIlEEKT_Lm3ENS7_16DefaultPtrTraitsElEENS_6detail16IndexBoundsCheckILm4ElEESE_Lm4ESF_lEENS9_INSA_ISC_SD_Lm3ESF_lEESJ_SD_Lm4ESF_lEEiiii.num_named_barrier, 0
	.set _ZN2at6native12_GLOBAL__N_132replication_pad_forward_kernel2dIN3c107complexIdEEEEvN5torch10headeronly6detail27GenericPackedTensorAccessorINS8_14TensorAccessorINS3_8ArrayRefIlEEKT_Lm3ENS7_16DefaultPtrTraitsElEENS_6detail16IndexBoundsCheckILm4ElEESE_Lm4ESF_lEENS9_INSA_ISC_SD_Lm3ESF_lEESJ_SD_Lm4ESF_lEEiiii.private_seg_size, 0
	.set _ZN2at6native12_GLOBAL__N_132replication_pad_forward_kernel2dIN3c107complexIdEEEEvN5torch10headeronly6detail27GenericPackedTensorAccessorINS8_14TensorAccessorINS3_8ArrayRefIlEEKT_Lm3ENS7_16DefaultPtrTraitsElEENS_6detail16IndexBoundsCheckILm4ElEESE_Lm4ESF_lEENS9_INSA_ISC_SD_Lm3ESF_lEESJ_SD_Lm4ESF_lEEiiii.uses_vcc, 1
	.set _ZN2at6native12_GLOBAL__N_132replication_pad_forward_kernel2dIN3c107complexIdEEEEvN5torch10headeronly6detail27GenericPackedTensorAccessorINS8_14TensorAccessorINS3_8ArrayRefIlEEKT_Lm3ENS7_16DefaultPtrTraitsElEENS_6detail16IndexBoundsCheckILm4ElEESE_Lm4ESF_lEENS9_INSA_ISC_SD_Lm3ESF_lEESJ_SD_Lm4ESF_lEEiiii.uses_flat_scratch, 0
	.set _ZN2at6native12_GLOBAL__N_132replication_pad_forward_kernel2dIN3c107complexIdEEEEvN5torch10headeronly6detail27GenericPackedTensorAccessorINS8_14TensorAccessorINS3_8ArrayRefIlEEKT_Lm3ENS7_16DefaultPtrTraitsElEENS_6detail16IndexBoundsCheckILm4ElEESE_Lm4ESF_lEENS9_INSA_ISC_SD_Lm3ESF_lEESJ_SD_Lm4ESF_lEEiiii.has_dyn_sized_stack, 0
	.set _ZN2at6native12_GLOBAL__N_132replication_pad_forward_kernel2dIN3c107complexIdEEEEvN5torch10headeronly6detail27GenericPackedTensorAccessorINS8_14TensorAccessorINS3_8ArrayRefIlEEKT_Lm3ENS7_16DefaultPtrTraitsElEENS_6detail16IndexBoundsCheckILm4ElEESE_Lm4ESF_lEENS9_INSA_ISC_SD_Lm3ESF_lEESJ_SD_Lm4ESF_lEEiiii.has_recursion, 0
	.set _ZN2at6native12_GLOBAL__N_132replication_pad_forward_kernel2dIN3c107complexIdEEEEvN5torch10headeronly6detail27GenericPackedTensorAccessorINS8_14TensorAccessorINS3_8ArrayRefIlEEKT_Lm3ENS7_16DefaultPtrTraitsElEENS_6detail16IndexBoundsCheckILm4ElEESE_Lm4ESF_lEENS9_INSA_ISC_SD_Lm3ESF_lEESJ_SD_Lm4ESF_lEEiiii.has_indirect_call, 0
	.section	.AMDGPU.csdata,"",@progbits
; Kernel info:
; codeLenInByte = 1396
; TotalNumSgprs: 27
; NumVgprs: 13
; ScratchSize: 0
; MemoryBound: 0
; FloatMode: 240
; IeeeMode: 1
; LDSByteSize: 0 bytes/workgroup (compile time only)
; SGPRBlocks: 3
; VGPRBlocks: 3
; NumSGPRsForWavesPerEU: 27
; NumVGPRsForWavesPerEU: 13
; Occupancy: 10
; WaveLimiterHint : 1
; COMPUTE_PGM_RSRC2:SCRATCH_EN: 0
; COMPUTE_PGM_RSRC2:USER_SGPR: 6
; COMPUTE_PGM_RSRC2:TRAP_HANDLER: 0
; COMPUTE_PGM_RSRC2:TGID_X_EN: 1
; COMPUTE_PGM_RSRC2:TGID_Y_EN: 1
; COMPUTE_PGM_RSRC2:TGID_Z_EN: 1
; COMPUTE_PGM_RSRC2:TIDIG_COMP_CNT: 0
	.section	.text._ZN2at6native12_GLOBAL__N_132replication_pad_forward_kernel2dIN3c107complexIfEEEEvN5torch10headeronly6detail27GenericPackedTensorAccessorINS8_14TensorAccessorINS3_8ArrayRefIlEEKT_Lm3ENS7_16DefaultPtrTraitsElEENS_6detail16IndexBoundsCheckILm4ElEESE_Lm4ESF_lEENS9_INSA_ISC_SD_Lm3ESF_lEESJ_SD_Lm4ESF_lEEiiii,"axG",@progbits,_ZN2at6native12_GLOBAL__N_132replication_pad_forward_kernel2dIN3c107complexIfEEEEvN5torch10headeronly6detail27GenericPackedTensorAccessorINS8_14TensorAccessorINS3_8ArrayRefIlEEKT_Lm3ENS7_16DefaultPtrTraitsElEENS_6detail16IndexBoundsCheckILm4ElEESE_Lm4ESF_lEENS9_INSA_ISC_SD_Lm3ESF_lEESJ_SD_Lm4ESF_lEEiiii,comdat
	.globl	_ZN2at6native12_GLOBAL__N_132replication_pad_forward_kernel2dIN3c107complexIfEEEEvN5torch10headeronly6detail27GenericPackedTensorAccessorINS8_14TensorAccessorINS3_8ArrayRefIlEEKT_Lm3ENS7_16DefaultPtrTraitsElEENS_6detail16IndexBoundsCheckILm4ElEESE_Lm4ESF_lEENS9_INSA_ISC_SD_Lm3ESF_lEESJ_SD_Lm4ESF_lEEiiii ; -- Begin function _ZN2at6native12_GLOBAL__N_132replication_pad_forward_kernel2dIN3c107complexIfEEEEvN5torch10headeronly6detail27GenericPackedTensorAccessorINS8_14TensorAccessorINS3_8ArrayRefIlEEKT_Lm3ENS7_16DefaultPtrTraitsElEENS_6detail16IndexBoundsCheckILm4ElEESE_Lm4ESF_lEENS9_INSA_ISC_SD_Lm3ESF_lEESJ_SD_Lm4ESF_lEEiiii
	.p2align	8
	.type	_ZN2at6native12_GLOBAL__N_132replication_pad_forward_kernel2dIN3c107complexIfEEEEvN5torch10headeronly6detail27GenericPackedTensorAccessorINS8_14TensorAccessorINS3_8ArrayRefIlEEKT_Lm3ENS7_16DefaultPtrTraitsElEENS_6detail16IndexBoundsCheckILm4ElEESE_Lm4ESF_lEENS9_INSA_ISC_SD_Lm3ESF_lEESJ_SD_Lm4ESF_lEEiiii,@function
_ZN2at6native12_GLOBAL__N_132replication_pad_forward_kernel2dIN3c107complexIfEEEEvN5torch10headeronly6detail27GenericPackedTensorAccessorINS8_14TensorAccessorINS3_8ArrayRefIlEEKT_Lm3ENS7_16DefaultPtrTraitsElEENS_6detail16IndexBoundsCheckILm4ElEESE_Lm4ESF_lEENS9_INSA_ISC_SD_Lm3ESF_lEESJ_SD_Lm4ESF_lEEiiii: ; @_ZN2at6native12_GLOBAL__N_132replication_pad_forward_kernel2dIN3c107complexIfEEEEvN5torch10headeronly6detail27GenericPackedTensorAccessorINS8_14TensorAccessorINS3_8ArrayRefIlEEKT_Lm3ENS7_16DefaultPtrTraitsElEENS_6detail16IndexBoundsCheckILm4ElEESE_Lm4ESF_lEENS9_INSA_ISC_SD_Lm3ESF_lEESJ_SD_Lm4ESF_lEEiiii
; %bb.0:
	s_load_dword s9, s[4:5], 0xac
	s_load_dwordx4 s[0:3], s[4:5], 0x60
	s_waitcnt lgkmcnt(0)
	s_and_b32 s9, s9, 0xffff
	s_mul_i32 s6, s6, s9
	v_add_u32_e32 v0, s6, v0
	s_mul_i32 s1, s2, s1
	s_mul_hi_u32 s6, s2, s0
	s_add_i32 s1, s6, s1
	s_mul_i32 s6, s3, s0
	v_ashrrev_i32_e32 v1, 31, v0
	s_add_i32 s1, s1, s6
	s_mul_i32 s0, s2, s0
	v_cmp_gt_i64_e32 vcc, s[0:1], v[0:1]
	s_and_saveexec_b64 s[0:1], vcc
	s_cbranch_execz .LBB37_6
; %bb.1:
	v_or_b32_e32 v3, s3, v1
	v_mov_b32_e32 v2, 0
	v_cmp_ne_u64_e32 vcc, 0, v[2:3]
                                        ; implicit-def: $vgpr2_vgpr3
	s_and_saveexec_b64 s[0:1], vcc
	s_xor_b64 s[10:11], exec, s[0:1]
	s_cbranch_execz .LBB37_3
; %bb.2:
	s_ashr_i32 s12, s3, 31
	s_add_u32 s0, s2, s12
	s_mov_b32 s13, s12
	s_addc_u32 s1, s3, s12
	s_xor_b64 s[14:15], s[0:1], s[12:13]
	v_cvt_f32_u32_e32 v2, s14
	v_cvt_f32_u32_e32 v3, s15
	s_sub_u32 s6, 0, s14
	s_subb_u32 s9, 0, s15
	v_ashrrev_i32_e32 v6, 31, v1
	v_madmk_f32 v2, v3, 0x4f800000, v2
	v_rcp_f32_e32 v2, v2
	v_mul_f32_e32 v2, 0x5f7ffffc, v2
	v_mul_f32_e32 v3, 0x2f800000, v2
	v_trunc_f32_e32 v3, v3
	v_madmk_f32 v2, v3, 0xcf800000, v2
	v_cvt_u32_f32_e32 v3, v3
	v_cvt_u32_f32_e32 v2, v2
	v_readfirstlane_b32 s13, v3
	v_readfirstlane_b32 s0, v2
	s_mul_i32 s1, s6, s13
	s_mul_hi_u32 s17, s6, s0
	s_mul_i32 s16, s9, s0
	s_add_i32 s1, s17, s1
	s_add_i32 s1, s1, s16
	s_mul_i32 s18, s6, s0
	s_mul_i32 s17, s0, s1
	s_mul_hi_u32 s19, s0, s18
	s_mul_hi_u32 s16, s0, s1
	s_add_u32 s17, s19, s17
	s_addc_u32 s16, 0, s16
	s_mul_hi_u32 s20, s13, s18
	s_mul_i32 s18, s13, s18
	s_add_u32 s17, s17, s18
	s_mul_hi_u32 s19, s13, s1
	s_addc_u32 s16, s16, s20
	s_addc_u32 s17, s19, 0
	s_mul_i32 s1, s13, s1
	s_add_u32 s1, s16, s1
	s_addc_u32 s16, 0, s17
	s_add_u32 s17, s0, s1
	s_cselect_b64 s[0:1], -1, 0
	s_cmp_lg_u64 s[0:1], 0
	s_addc_u32 s13, s13, s16
	s_mul_i32 s0, s6, s13
	s_mul_hi_u32 s1, s6, s17
	s_add_i32 s0, s1, s0
	s_mul_i32 s9, s9, s17
	s_add_i32 s0, s0, s9
	s_mul_i32 s6, s6, s17
	s_mul_hi_u32 s9, s13, s6
	s_mul_i32 s16, s13, s6
	s_mul_i32 s19, s17, s0
	s_mul_hi_u32 s6, s17, s6
	s_mul_hi_u32 s18, s17, s0
	s_add_u32 s6, s6, s19
	s_addc_u32 s18, 0, s18
	s_add_u32 s6, s6, s16
	s_mul_hi_u32 s1, s13, s0
	s_addc_u32 s6, s18, s9
	s_addc_u32 s1, s1, 0
	s_mul_i32 s0, s13, s0
	s_add_u32 s0, s6, s0
	s_addc_u32 s6, 0, s1
	s_add_u32 s9, s17, s0
	s_cselect_b64 s[0:1], -1, 0
	s_cmp_lg_u64 s[0:1], 0
	v_add_co_u32_e32 v2, vcc, v0, v6
	s_addc_u32 s6, s13, s6
	v_xor_b32_e32 v7, v2, v6
	v_mad_u64_u32 v[2:3], s[0:1], v7, s6, 0
	v_mul_hi_u32 v5, v7, s9
	v_addc_co_u32_e32 v4, vcc, v1, v6, vcc
	v_xor_b32_e32 v8, v4, v6
	v_add_co_u32_e32 v9, vcc, v5, v2
	v_addc_co_u32_e32 v10, vcc, 0, v3, vcc
	v_mad_u64_u32 v[2:3], s[0:1], v8, s9, 0
	v_mad_u64_u32 v[4:5], s[0:1], v8, s6, 0
	v_add_co_u32_e32 v2, vcc, v9, v2
	v_addc_co_u32_e32 v2, vcc, v10, v3, vcc
	v_addc_co_u32_e32 v3, vcc, 0, v5, vcc
	v_add_co_u32_e32 v4, vcc, v2, v4
	v_addc_co_u32_e32 v5, vcc, 0, v3, vcc
	v_mul_lo_u32 v9, s15, v4
	v_mul_lo_u32 v10, s14, v5
	v_mad_u64_u32 v[2:3], s[0:1], s14, v4, 0
	v_add3_u32 v3, v3, v10, v9
	v_sub_u32_e32 v9, v8, v3
	v_mov_b32_e32 v10, s15
	v_sub_co_u32_e32 v2, vcc, v7, v2
	v_subb_co_u32_e64 v7, s[0:1], v9, v10, vcc
	v_subrev_co_u32_e64 v9, s[0:1], s14, v2
	v_subbrev_co_u32_e64 v7, s[0:1], 0, v7, s[0:1]
	v_cmp_le_u32_e64 s[0:1], s15, v7
	v_cndmask_b32_e64 v10, 0, -1, s[0:1]
	v_cmp_le_u32_e64 s[0:1], s14, v9
	v_cndmask_b32_e64 v9, 0, -1, s[0:1]
	v_cmp_eq_u32_e64 s[0:1], s15, v7
	v_cndmask_b32_e64 v7, v10, v9, s[0:1]
	v_add_co_u32_e64 v9, s[0:1], 2, v4
	v_subb_co_u32_e32 v3, vcc, v8, v3, vcc
	v_addc_co_u32_e64 v10, s[0:1], 0, v5, s[0:1]
	v_cmp_le_u32_e32 vcc, s15, v3
	v_add_co_u32_e64 v11, s[0:1], 1, v4
	v_cndmask_b32_e64 v8, 0, -1, vcc
	v_cmp_le_u32_e32 vcc, s14, v2
	v_addc_co_u32_e64 v12, s[0:1], 0, v5, s[0:1]
	v_cndmask_b32_e64 v2, 0, -1, vcc
	v_cmp_eq_u32_e32 vcc, s15, v3
	v_cmp_ne_u32_e64 s[0:1], 0, v7
	v_cndmask_b32_e32 v2, v8, v2, vcc
	v_cndmask_b32_e64 v7, v12, v10, s[0:1]
	v_cmp_ne_u32_e32 vcc, 0, v2
	v_cndmask_b32_e64 v3, v11, v9, s[0:1]
	v_cndmask_b32_e32 v2, v5, v7, vcc
	v_cndmask_b32_e32 v3, v4, v3, vcc
	v_xor_b32_e32 v4, s12, v6
	v_xor_b32_e32 v5, v2, v4
	v_xor_b32_e32 v2, v3, v4
	v_sub_co_u32_e32 v2, vcc, v2, v4
	v_subb_co_u32_e32 v3, vcc, v5, v4, vcc
.LBB37_3:
	s_andn2_saveexec_b64 s[0:1], s[10:11]
	s_cbranch_execz .LBB37_5
; %bb.4:
	v_cvt_f32_u32_e32 v2, s2
	s_sub_i32 s6, 0, s2
	v_rcp_iflag_f32_e32 v2, v2
	v_mul_f32_e32 v2, 0x4f7ffffe, v2
	v_cvt_u32_f32_e32 v2, v2
	v_mul_lo_u32 v3, s6, v2
	v_mul_hi_u32 v3, v2, v3
	v_add_u32_e32 v2, v2, v3
	v_mul_hi_u32 v2, v0, v2
	v_mul_lo_u32 v3, v2, s2
	v_add_u32_e32 v4, 1, v2
	v_sub_u32_e32 v3, v0, v3
	v_subrev_u32_e32 v5, s2, v3
	v_cmp_le_u32_e32 vcc, s2, v3
	v_cndmask_b32_e32 v3, v3, v5, vcc
	v_cndmask_b32_e32 v2, v2, v4, vcc
	v_add_u32_e32 v4, 1, v2
	v_cmp_le_u32_e32 vcc, s2, v3
	v_cndmask_b32_e32 v2, v2, v4, vcc
	v_mov_b32_e32 v3, 0
.LBB37_5:
	s_or_b64 exec, exec, s[0:1]
	s_load_dwordx4 s[16:19], s[4:5], 0x90
	v_mul_lo_u32 v5, v3, s2
	v_mul_lo_u32 v6, v2, s3
	v_mad_u64_u32 v[3:4], s[0:1], v2, s2, 0
	s_waitcnt lgkmcnt(0)
	s_add_i32 s19, s19, s8
	s_load_dwordx8 s[8:15], s[4:5], 0x18
	v_add3_u32 v4, v4, v6, v5
	v_sub_co_u32_e32 v5, vcc, v0, v3
	s_sub_i32 s0, 0, s17
	s_waitcnt lgkmcnt(0)
	s_add_i32 s10, s17, s10
	s_max_i32 s20, s0, 0
	s_max_i32 s22, s17, 0
	v_max_i32_e32 v0, s17, v5
	s_add_i32 s10, s10, -1
	s_sub_i32 s0, 0, s16
	v_min_i32_e32 v0, s10, v0
	s_sub_i32 s10, s20, s22
	s_add_i32 s8, s16, s8
	s_max_i32 s21, s0, 0
	s_max_i32 s9, s16, 0
	v_add_u32_e32 v3, s10, v0
	v_max_i32_e32 v0, s16, v2
	s_add_i32 s8, s8, -1
	v_min_i32_e32 v0, s8, v0
	s_sub_i32 s8, s21, s9
	s_ashr_i32 s16, s19, 31
	s_add_i32 s18, s18, s7
	s_load_dwordx2 s[6:7], s[4:5], 0x0
	s_load_dwordx4 s[0:3], s[4:5], 0x38
	v_add_u32_e32 v0, s8, v0
	s_mul_i32 s8, s12, s16
	s_mul_hi_u32 s9, s12, s19
	s_add_i32 s8, s9, s8
	s_mul_i32 s9, s13, s19
	s_add_i32 s9, s8, s9
	s_mul_i32 s8, s12, s19
	s_lshl_b64 s[8:9], s[8:9], 3
	s_waitcnt lgkmcnt(0)
	s_add_u32 s8, s6, s8
	s_addc_u32 s9, s7, s9
	s_ashr_i32 s17, s18, 31
	v_subb_co_u32_e32 v6, vcc, v1, v4, vcc
	s_mul_i32 s6, s14, s17
	s_mul_hi_u32 s7, s14, s18
	v_ashrrev_i32_e32 v1, 31, v0
	s_add_i32 s6, s7, s6
	s_mul_i32 s7, s15, s18
	v_mul_lo_u32 v4, s0, v1
	v_mul_lo_u32 v7, s1, v0
	v_mad_u64_u32 v[0:1], s[0:1], s0, v0, 0
	s_add_i32 s7, s6, s7
	s_mul_i32 s6, s14, s18
	s_lshl_b64 s[0:1], s[6:7], 3
	s_add_u32 s6, s8, s0
	s_addc_u32 s0, s9, s1
	v_add3_u32 v1, v1, v4, v7
	v_ashrrev_i32_e32 v4, 31, v3
	v_mov_b32_e32 v7, s0
	v_mul_lo_u32 v8, s2, v4
	v_mul_lo_u32 v9, s3, v3
	v_mad_u64_u32 v[3:4], s[0:1], s2, v3, 0
	v_lshlrev_b64 v[0:1], 3, v[0:1]
	v_add_co_u32_e32 v10, vcc, s6, v0
	v_add3_u32 v4, v4, v8, v9
	v_addc_co_u32_e32 v7, vcc, v7, v1, vcc
	v_lshlrev_b64 v[0:1], 3, v[3:4]
	v_ashrrev_i32_e32 v3, 31, v2
	v_add_co_u32_e32 v0, vcc, v10, v0
	v_addc_co_u32_e32 v1, vcc, v7, v1, vcc
	global_load_dwordx2 v[0:1], v[0:1], off
	s_load_dwordx8 s[8:15], s[4:5], 0x70
	s_load_dwordx2 s[0:1], s[4:5], 0x48
	s_waitcnt lgkmcnt(0)
	s_mul_i32 s2, s8, s16
	s_mul_hi_u32 s3, s8, s19
	s_add_i32 s2, s3, s2
	s_mul_i32 s3, s9, s19
	s_add_i32 s3, s2, s3
	s_mul_i32 s2, s8, s19
	s_lshl_b64 s[2:3], s[2:3], 3
	s_add_u32 s4, s0, s2
	s_addc_u32 s5, s1, s3
	s_mul_i32 s0, s10, s17
	s_mul_hi_u32 s1, s10, s18
	s_add_i32 s0, s1, s0
	s_mul_i32 s1, s11, s18
	s_add_i32 s1, s0, s1
	s_mul_i32 s0, s10, s18
	v_mul_lo_u32 v4, s13, v2
	v_mul_lo_u32 v7, s12, v3
	v_mad_u64_u32 v[2:3], s[2:3], s12, v2, 0
	s_lshl_b64 s[0:1], s[0:1], 3
	s_add_u32 s2, s4, s0
	s_addc_u32 s0, s5, s1
	v_add3_u32 v3, v3, v7, v4
	v_mov_b32_e32 v7, s0
	v_mul_lo_u32 v8, s15, v5
	v_mul_lo_u32 v6, s14, v6
	v_mad_u64_u32 v[4:5], s[0:1], s14, v5, 0
	v_lshlrev_b64 v[2:3], 3, v[2:3]
	v_add_co_u32_e32 v9, vcc, s2, v2
	v_add3_u32 v5, v5, v6, v8
	v_addc_co_u32_e32 v7, vcc, v7, v3, vcc
	v_lshlrev_b64 v[2:3], 3, v[4:5]
	v_add_co_u32_e32 v2, vcc, v9, v2
	v_addc_co_u32_e32 v3, vcc, v7, v3, vcc
	s_waitcnt vmcnt(0)
	global_store_dwordx2 v[2:3], v[0:1], off
.LBB37_6:
	s_endpgm
	.section	.rodata,"a",@progbits
	.p2align	6, 0x0
	.amdhsa_kernel _ZN2at6native12_GLOBAL__N_132replication_pad_forward_kernel2dIN3c107complexIfEEEEvN5torch10headeronly6detail27GenericPackedTensorAccessorINS8_14TensorAccessorINS3_8ArrayRefIlEEKT_Lm3ENS7_16DefaultPtrTraitsElEENS_6detail16IndexBoundsCheckILm4ElEESE_Lm4ESF_lEENS9_INSA_ISC_SD_Lm3ESF_lEESJ_SD_Lm4ESF_lEEiiii
		.amdhsa_group_segment_fixed_size 0
		.amdhsa_private_segment_fixed_size 0
		.amdhsa_kernarg_size 416
		.amdhsa_user_sgpr_count 6
		.amdhsa_user_sgpr_private_segment_buffer 1
		.amdhsa_user_sgpr_dispatch_ptr 0
		.amdhsa_user_sgpr_queue_ptr 0
		.amdhsa_user_sgpr_kernarg_segment_ptr 1
		.amdhsa_user_sgpr_dispatch_id 0
		.amdhsa_user_sgpr_flat_scratch_init 0
		.amdhsa_user_sgpr_private_segment_size 0
		.amdhsa_uses_dynamic_stack 0
		.amdhsa_system_sgpr_private_segment_wavefront_offset 0
		.amdhsa_system_sgpr_workgroup_id_x 1
		.amdhsa_system_sgpr_workgroup_id_y 1
		.amdhsa_system_sgpr_workgroup_id_z 1
		.amdhsa_system_sgpr_workgroup_info 0
		.amdhsa_system_vgpr_workitem_id 0
		.amdhsa_next_free_vgpr 13
		.amdhsa_next_free_sgpr 23
		.amdhsa_reserve_vcc 1
		.amdhsa_reserve_flat_scratch 0
		.amdhsa_float_round_mode_32 0
		.amdhsa_float_round_mode_16_64 0
		.amdhsa_float_denorm_mode_32 3
		.amdhsa_float_denorm_mode_16_64 3
		.amdhsa_dx10_clamp 1
		.amdhsa_ieee_mode 1
		.amdhsa_fp16_overflow 0
		.amdhsa_exception_fp_ieee_invalid_op 0
		.amdhsa_exception_fp_denorm_src 0
		.amdhsa_exception_fp_ieee_div_zero 0
		.amdhsa_exception_fp_ieee_overflow 0
		.amdhsa_exception_fp_ieee_underflow 0
		.amdhsa_exception_fp_ieee_inexact 0
		.amdhsa_exception_int_div_zero 0
	.end_amdhsa_kernel
	.section	.text._ZN2at6native12_GLOBAL__N_132replication_pad_forward_kernel2dIN3c107complexIfEEEEvN5torch10headeronly6detail27GenericPackedTensorAccessorINS8_14TensorAccessorINS3_8ArrayRefIlEEKT_Lm3ENS7_16DefaultPtrTraitsElEENS_6detail16IndexBoundsCheckILm4ElEESE_Lm4ESF_lEENS9_INSA_ISC_SD_Lm3ESF_lEESJ_SD_Lm4ESF_lEEiiii,"axG",@progbits,_ZN2at6native12_GLOBAL__N_132replication_pad_forward_kernel2dIN3c107complexIfEEEEvN5torch10headeronly6detail27GenericPackedTensorAccessorINS8_14TensorAccessorINS3_8ArrayRefIlEEKT_Lm3ENS7_16DefaultPtrTraitsElEENS_6detail16IndexBoundsCheckILm4ElEESE_Lm4ESF_lEENS9_INSA_ISC_SD_Lm3ESF_lEESJ_SD_Lm4ESF_lEEiiii,comdat
.Lfunc_end37:
	.size	_ZN2at6native12_GLOBAL__N_132replication_pad_forward_kernel2dIN3c107complexIfEEEEvN5torch10headeronly6detail27GenericPackedTensorAccessorINS8_14TensorAccessorINS3_8ArrayRefIlEEKT_Lm3ENS7_16DefaultPtrTraitsElEENS_6detail16IndexBoundsCheckILm4ElEESE_Lm4ESF_lEENS9_INSA_ISC_SD_Lm3ESF_lEESJ_SD_Lm4ESF_lEEiiii, .Lfunc_end37-_ZN2at6native12_GLOBAL__N_132replication_pad_forward_kernel2dIN3c107complexIfEEEEvN5torch10headeronly6detail27GenericPackedTensorAccessorINS8_14TensorAccessorINS3_8ArrayRefIlEEKT_Lm3ENS7_16DefaultPtrTraitsElEENS_6detail16IndexBoundsCheckILm4ElEESE_Lm4ESF_lEENS9_INSA_ISC_SD_Lm3ESF_lEESJ_SD_Lm4ESF_lEEiiii
                                        ; -- End function
	.set _ZN2at6native12_GLOBAL__N_132replication_pad_forward_kernel2dIN3c107complexIfEEEEvN5torch10headeronly6detail27GenericPackedTensorAccessorINS8_14TensorAccessorINS3_8ArrayRefIlEEKT_Lm3ENS7_16DefaultPtrTraitsElEENS_6detail16IndexBoundsCheckILm4ElEESE_Lm4ESF_lEENS9_INSA_ISC_SD_Lm3ESF_lEESJ_SD_Lm4ESF_lEEiiii.num_vgpr, 13
	.set _ZN2at6native12_GLOBAL__N_132replication_pad_forward_kernel2dIN3c107complexIfEEEEvN5torch10headeronly6detail27GenericPackedTensorAccessorINS8_14TensorAccessorINS3_8ArrayRefIlEEKT_Lm3ENS7_16DefaultPtrTraitsElEENS_6detail16IndexBoundsCheckILm4ElEESE_Lm4ESF_lEENS9_INSA_ISC_SD_Lm3ESF_lEESJ_SD_Lm4ESF_lEEiiii.num_agpr, 0
	.set _ZN2at6native12_GLOBAL__N_132replication_pad_forward_kernel2dIN3c107complexIfEEEEvN5torch10headeronly6detail27GenericPackedTensorAccessorINS8_14TensorAccessorINS3_8ArrayRefIlEEKT_Lm3ENS7_16DefaultPtrTraitsElEENS_6detail16IndexBoundsCheckILm4ElEESE_Lm4ESF_lEENS9_INSA_ISC_SD_Lm3ESF_lEESJ_SD_Lm4ESF_lEEiiii.numbered_sgpr, 23
	.set _ZN2at6native12_GLOBAL__N_132replication_pad_forward_kernel2dIN3c107complexIfEEEEvN5torch10headeronly6detail27GenericPackedTensorAccessorINS8_14TensorAccessorINS3_8ArrayRefIlEEKT_Lm3ENS7_16DefaultPtrTraitsElEENS_6detail16IndexBoundsCheckILm4ElEESE_Lm4ESF_lEENS9_INSA_ISC_SD_Lm3ESF_lEESJ_SD_Lm4ESF_lEEiiii.num_named_barrier, 0
	.set _ZN2at6native12_GLOBAL__N_132replication_pad_forward_kernel2dIN3c107complexIfEEEEvN5torch10headeronly6detail27GenericPackedTensorAccessorINS8_14TensorAccessorINS3_8ArrayRefIlEEKT_Lm3ENS7_16DefaultPtrTraitsElEENS_6detail16IndexBoundsCheckILm4ElEESE_Lm4ESF_lEENS9_INSA_ISC_SD_Lm3ESF_lEESJ_SD_Lm4ESF_lEEiiii.private_seg_size, 0
	.set _ZN2at6native12_GLOBAL__N_132replication_pad_forward_kernel2dIN3c107complexIfEEEEvN5torch10headeronly6detail27GenericPackedTensorAccessorINS8_14TensorAccessorINS3_8ArrayRefIlEEKT_Lm3ENS7_16DefaultPtrTraitsElEENS_6detail16IndexBoundsCheckILm4ElEESE_Lm4ESF_lEENS9_INSA_ISC_SD_Lm3ESF_lEESJ_SD_Lm4ESF_lEEiiii.uses_vcc, 1
	.set _ZN2at6native12_GLOBAL__N_132replication_pad_forward_kernel2dIN3c107complexIfEEEEvN5torch10headeronly6detail27GenericPackedTensorAccessorINS8_14TensorAccessorINS3_8ArrayRefIlEEKT_Lm3ENS7_16DefaultPtrTraitsElEENS_6detail16IndexBoundsCheckILm4ElEESE_Lm4ESF_lEENS9_INSA_ISC_SD_Lm3ESF_lEESJ_SD_Lm4ESF_lEEiiii.uses_flat_scratch, 0
	.set _ZN2at6native12_GLOBAL__N_132replication_pad_forward_kernel2dIN3c107complexIfEEEEvN5torch10headeronly6detail27GenericPackedTensorAccessorINS8_14TensorAccessorINS3_8ArrayRefIlEEKT_Lm3ENS7_16DefaultPtrTraitsElEENS_6detail16IndexBoundsCheckILm4ElEESE_Lm4ESF_lEENS9_INSA_ISC_SD_Lm3ESF_lEESJ_SD_Lm4ESF_lEEiiii.has_dyn_sized_stack, 0
	.set _ZN2at6native12_GLOBAL__N_132replication_pad_forward_kernel2dIN3c107complexIfEEEEvN5torch10headeronly6detail27GenericPackedTensorAccessorINS8_14TensorAccessorINS3_8ArrayRefIlEEKT_Lm3ENS7_16DefaultPtrTraitsElEENS_6detail16IndexBoundsCheckILm4ElEESE_Lm4ESF_lEENS9_INSA_ISC_SD_Lm3ESF_lEESJ_SD_Lm4ESF_lEEiiii.has_recursion, 0
	.set _ZN2at6native12_GLOBAL__N_132replication_pad_forward_kernel2dIN3c107complexIfEEEEvN5torch10headeronly6detail27GenericPackedTensorAccessorINS8_14TensorAccessorINS3_8ArrayRefIlEEKT_Lm3ENS7_16DefaultPtrTraitsElEENS_6detail16IndexBoundsCheckILm4ElEESE_Lm4ESF_lEENS9_INSA_ISC_SD_Lm3ESF_lEESJ_SD_Lm4ESF_lEEiiii.has_indirect_call, 0
	.section	.AMDGPU.csdata,"",@progbits
; Kernel info:
; codeLenInByte = 1396
; TotalNumSgprs: 27
; NumVgprs: 13
; ScratchSize: 0
; MemoryBound: 0
; FloatMode: 240
; IeeeMode: 1
; LDSByteSize: 0 bytes/workgroup (compile time only)
; SGPRBlocks: 3
; VGPRBlocks: 3
; NumSGPRsForWavesPerEU: 27
; NumVGPRsForWavesPerEU: 13
; Occupancy: 10
; WaveLimiterHint : 1
; COMPUTE_PGM_RSRC2:SCRATCH_EN: 0
; COMPUTE_PGM_RSRC2:USER_SGPR: 6
; COMPUTE_PGM_RSRC2:TRAP_HANDLER: 0
; COMPUTE_PGM_RSRC2:TGID_X_EN: 1
; COMPUTE_PGM_RSRC2:TGID_Y_EN: 1
; COMPUTE_PGM_RSRC2:TGID_Z_EN: 1
; COMPUTE_PGM_RSRC2:TIDIG_COMP_CNT: 0
	.section	.text._ZN2at6native12_GLOBAL__N_132replication_pad_forward_kernel2dIN3c104HalfEEEvN5torch10headeronly6detail27GenericPackedTensorAccessorINS7_14TensorAccessorINS3_8ArrayRefIlEEKT_Lm3ENS6_16DefaultPtrTraitsElEENS_6detail16IndexBoundsCheckILm4ElEESD_Lm4ESE_lEENS8_INS9_ISB_SC_Lm3ESE_lEESI_SC_Lm4ESE_lEEiiii,"axG",@progbits,_ZN2at6native12_GLOBAL__N_132replication_pad_forward_kernel2dIN3c104HalfEEEvN5torch10headeronly6detail27GenericPackedTensorAccessorINS7_14TensorAccessorINS3_8ArrayRefIlEEKT_Lm3ENS6_16DefaultPtrTraitsElEENS_6detail16IndexBoundsCheckILm4ElEESD_Lm4ESE_lEENS8_INS9_ISB_SC_Lm3ESE_lEESI_SC_Lm4ESE_lEEiiii,comdat
	.globl	_ZN2at6native12_GLOBAL__N_132replication_pad_forward_kernel2dIN3c104HalfEEEvN5torch10headeronly6detail27GenericPackedTensorAccessorINS7_14TensorAccessorINS3_8ArrayRefIlEEKT_Lm3ENS6_16DefaultPtrTraitsElEENS_6detail16IndexBoundsCheckILm4ElEESD_Lm4ESE_lEENS8_INS9_ISB_SC_Lm3ESE_lEESI_SC_Lm4ESE_lEEiiii ; -- Begin function _ZN2at6native12_GLOBAL__N_132replication_pad_forward_kernel2dIN3c104HalfEEEvN5torch10headeronly6detail27GenericPackedTensorAccessorINS7_14TensorAccessorINS3_8ArrayRefIlEEKT_Lm3ENS6_16DefaultPtrTraitsElEENS_6detail16IndexBoundsCheckILm4ElEESD_Lm4ESE_lEENS8_INS9_ISB_SC_Lm3ESE_lEESI_SC_Lm4ESE_lEEiiii
	.p2align	8
	.type	_ZN2at6native12_GLOBAL__N_132replication_pad_forward_kernel2dIN3c104HalfEEEvN5torch10headeronly6detail27GenericPackedTensorAccessorINS7_14TensorAccessorINS3_8ArrayRefIlEEKT_Lm3ENS6_16DefaultPtrTraitsElEENS_6detail16IndexBoundsCheckILm4ElEESD_Lm4ESE_lEENS8_INS9_ISB_SC_Lm3ESE_lEESI_SC_Lm4ESE_lEEiiii,@function
_ZN2at6native12_GLOBAL__N_132replication_pad_forward_kernel2dIN3c104HalfEEEvN5torch10headeronly6detail27GenericPackedTensorAccessorINS7_14TensorAccessorINS3_8ArrayRefIlEEKT_Lm3ENS6_16DefaultPtrTraitsElEENS_6detail16IndexBoundsCheckILm4ElEESD_Lm4ESE_lEENS8_INS9_ISB_SC_Lm3ESE_lEESI_SC_Lm4ESE_lEEiiii: ; @_ZN2at6native12_GLOBAL__N_132replication_pad_forward_kernel2dIN3c104HalfEEEvN5torch10headeronly6detail27GenericPackedTensorAccessorINS7_14TensorAccessorINS3_8ArrayRefIlEEKT_Lm3ENS6_16DefaultPtrTraitsElEENS_6detail16IndexBoundsCheckILm4ElEESD_Lm4ESE_lEENS8_INS9_ISB_SC_Lm3ESE_lEESI_SC_Lm4ESE_lEEiiii
; %bb.0:
	s_load_dword s9, s[4:5], 0xac
	s_load_dwordx4 s[0:3], s[4:5], 0x60
	s_waitcnt lgkmcnt(0)
	s_and_b32 s9, s9, 0xffff
	s_mul_i32 s6, s6, s9
	v_add_u32_e32 v0, s6, v0
	s_mul_i32 s1, s2, s1
	s_mul_hi_u32 s6, s2, s0
	s_add_i32 s1, s6, s1
	s_mul_i32 s6, s3, s0
	v_ashrrev_i32_e32 v1, 31, v0
	s_add_i32 s1, s1, s6
	s_mul_i32 s0, s2, s0
	v_cmp_gt_i64_e32 vcc, s[0:1], v[0:1]
	s_and_saveexec_b64 s[0:1], vcc
	s_cbranch_execz .LBB38_6
; %bb.1:
	v_or_b32_e32 v3, s3, v1
	v_mov_b32_e32 v2, 0
	v_cmp_ne_u64_e32 vcc, 0, v[2:3]
                                        ; implicit-def: $vgpr2_vgpr3
	s_and_saveexec_b64 s[0:1], vcc
	s_xor_b64 s[10:11], exec, s[0:1]
	s_cbranch_execz .LBB38_3
; %bb.2:
	s_ashr_i32 s12, s3, 31
	s_add_u32 s0, s2, s12
	s_mov_b32 s13, s12
	s_addc_u32 s1, s3, s12
	s_xor_b64 s[14:15], s[0:1], s[12:13]
	v_cvt_f32_u32_e32 v2, s14
	v_cvt_f32_u32_e32 v3, s15
	s_sub_u32 s6, 0, s14
	s_subb_u32 s9, 0, s15
	v_ashrrev_i32_e32 v6, 31, v1
	v_madmk_f32 v2, v3, 0x4f800000, v2
	v_rcp_f32_e32 v2, v2
	v_mul_f32_e32 v2, 0x5f7ffffc, v2
	v_mul_f32_e32 v3, 0x2f800000, v2
	v_trunc_f32_e32 v3, v3
	v_madmk_f32 v2, v3, 0xcf800000, v2
	v_cvt_u32_f32_e32 v3, v3
	v_cvt_u32_f32_e32 v2, v2
	v_readfirstlane_b32 s13, v3
	v_readfirstlane_b32 s0, v2
	s_mul_i32 s1, s6, s13
	s_mul_hi_u32 s17, s6, s0
	s_mul_i32 s16, s9, s0
	s_add_i32 s1, s17, s1
	s_add_i32 s1, s1, s16
	s_mul_i32 s18, s6, s0
	s_mul_i32 s17, s0, s1
	s_mul_hi_u32 s19, s0, s18
	s_mul_hi_u32 s16, s0, s1
	s_add_u32 s17, s19, s17
	s_addc_u32 s16, 0, s16
	s_mul_hi_u32 s20, s13, s18
	s_mul_i32 s18, s13, s18
	s_add_u32 s17, s17, s18
	s_mul_hi_u32 s19, s13, s1
	s_addc_u32 s16, s16, s20
	s_addc_u32 s17, s19, 0
	s_mul_i32 s1, s13, s1
	s_add_u32 s1, s16, s1
	s_addc_u32 s16, 0, s17
	s_add_u32 s17, s0, s1
	s_cselect_b64 s[0:1], -1, 0
	s_cmp_lg_u64 s[0:1], 0
	s_addc_u32 s13, s13, s16
	s_mul_i32 s0, s6, s13
	s_mul_hi_u32 s1, s6, s17
	s_add_i32 s0, s1, s0
	s_mul_i32 s9, s9, s17
	s_add_i32 s0, s0, s9
	s_mul_i32 s6, s6, s17
	s_mul_hi_u32 s9, s13, s6
	s_mul_i32 s16, s13, s6
	s_mul_i32 s19, s17, s0
	s_mul_hi_u32 s6, s17, s6
	s_mul_hi_u32 s18, s17, s0
	s_add_u32 s6, s6, s19
	s_addc_u32 s18, 0, s18
	s_add_u32 s6, s6, s16
	s_mul_hi_u32 s1, s13, s0
	s_addc_u32 s6, s18, s9
	s_addc_u32 s1, s1, 0
	s_mul_i32 s0, s13, s0
	s_add_u32 s0, s6, s0
	s_addc_u32 s6, 0, s1
	s_add_u32 s9, s17, s0
	s_cselect_b64 s[0:1], -1, 0
	s_cmp_lg_u64 s[0:1], 0
	v_add_co_u32_e32 v2, vcc, v0, v6
	s_addc_u32 s6, s13, s6
	v_xor_b32_e32 v7, v2, v6
	v_mad_u64_u32 v[2:3], s[0:1], v7, s6, 0
	v_mul_hi_u32 v5, v7, s9
	v_addc_co_u32_e32 v4, vcc, v1, v6, vcc
	v_xor_b32_e32 v8, v4, v6
	v_add_co_u32_e32 v9, vcc, v5, v2
	v_addc_co_u32_e32 v10, vcc, 0, v3, vcc
	v_mad_u64_u32 v[2:3], s[0:1], v8, s9, 0
	v_mad_u64_u32 v[4:5], s[0:1], v8, s6, 0
	v_add_co_u32_e32 v2, vcc, v9, v2
	v_addc_co_u32_e32 v2, vcc, v10, v3, vcc
	v_addc_co_u32_e32 v3, vcc, 0, v5, vcc
	v_add_co_u32_e32 v4, vcc, v2, v4
	v_addc_co_u32_e32 v5, vcc, 0, v3, vcc
	v_mul_lo_u32 v9, s15, v4
	v_mul_lo_u32 v10, s14, v5
	v_mad_u64_u32 v[2:3], s[0:1], s14, v4, 0
	v_add3_u32 v3, v3, v10, v9
	v_sub_u32_e32 v9, v8, v3
	v_mov_b32_e32 v10, s15
	v_sub_co_u32_e32 v2, vcc, v7, v2
	v_subb_co_u32_e64 v7, s[0:1], v9, v10, vcc
	v_subrev_co_u32_e64 v9, s[0:1], s14, v2
	v_subbrev_co_u32_e64 v7, s[0:1], 0, v7, s[0:1]
	v_cmp_le_u32_e64 s[0:1], s15, v7
	v_cndmask_b32_e64 v10, 0, -1, s[0:1]
	v_cmp_le_u32_e64 s[0:1], s14, v9
	v_cndmask_b32_e64 v9, 0, -1, s[0:1]
	v_cmp_eq_u32_e64 s[0:1], s15, v7
	v_cndmask_b32_e64 v7, v10, v9, s[0:1]
	v_add_co_u32_e64 v9, s[0:1], 2, v4
	v_subb_co_u32_e32 v3, vcc, v8, v3, vcc
	v_addc_co_u32_e64 v10, s[0:1], 0, v5, s[0:1]
	v_cmp_le_u32_e32 vcc, s15, v3
	v_add_co_u32_e64 v11, s[0:1], 1, v4
	v_cndmask_b32_e64 v8, 0, -1, vcc
	v_cmp_le_u32_e32 vcc, s14, v2
	v_addc_co_u32_e64 v12, s[0:1], 0, v5, s[0:1]
	v_cndmask_b32_e64 v2, 0, -1, vcc
	v_cmp_eq_u32_e32 vcc, s15, v3
	v_cmp_ne_u32_e64 s[0:1], 0, v7
	v_cndmask_b32_e32 v2, v8, v2, vcc
	v_cndmask_b32_e64 v7, v12, v10, s[0:1]
	v_cmp_ne_u32_e32 vcc, 0, v2
	v_cndmask_b32_e64 v3, v11, v9, s[0:1]
	v_cndmask_b32_e32 v2, v5, v7, vcc
	v_cndmask_b32_e32 v3, v4, v3, vcc
	v_xor_b32_e32 v4, s12, v6
	v_xor_b32_e32 v5, v2, v4
	;; [unrolled: 1-line block ×3, first 2 shown]
	v_sub_co_u32_e32 v2, vcc, v2, v4
	v_subb_co_u32_e32 v3, vcc, v5, v4, vcc
.LBB38_3:
	s_andn2_saveexec_b64 s[0:1], s[10:11]
	s_cbranch_execz .LBB38_5
; %bb.4:
	v_cvt_f32_u32_e32 v2, s2
	s_sub_i32 s6, 0, s2
	v_rcp_iflag_f32_e32 v2, v2
	v_mul_f32_e32 v2, 0x4f7ffffe, v2
	v_cvt_u32_f32_e32 v2, v2
	v_mul_lo_u32 v3, s6, v2
	v_mul_hi_u32 v3, v2, v3
	v_add_u32_e32 v2, v2, v3
	v_mul_hi_u32 v2, v0, v2
	v_mul_lo_u32 v3, v2, s2
	v_add_u32_e32 v4, 1, v2
	v_sub_u32_e32 v3, v0, v3
	v_subrev_u32_e32 v5, s2, v3
	v_cmp_le_u32_e32 vcc, s2, v3
	v_cndmask_b32_e32 v3, v3, v5, vcc
	v_cndmask_b32_e32 v2, v2, v4, vcc
	v_add_u32_e32 v4, 1, v2
	v_cmp_le_u32_e32 vcc, s2, v3
	v_cndmask_b32_e32 v2, v2, v4, vcc
	v_mov_b32_e32 v3, 0
.LBB38_5:
	s_or_b64 exec, exec, s[0:1]
	s_load_dwordx4 s[16:19], s[4:5], 0x90
	v_mul_lo_u32 v5, v3, s2
	v_mul_lo_u32 v6, v2, s3
	v_mad_u64_u32 v[3:4], s[0:1], v2, s2, 0
	s_waitcnt lgkmcnt(0)
	s_add_i32 s19, s19, s8
	s_load_dwordx8 s[8:15], s[4:5], 0x18
	v_add3_u32 v4, v4, v6, v5
	v_sub_co_u32_e32 v5, vcc, v0, v3
	s_sub_i32 s0, 0, s17
	s_waitcnt lgkmcnt(0)
	s_add_i32 s10, s17, s10
	s_max_i32 s20, s0, 0
	s_max_i32 s22, s17, 0
	v_max_i32_e32 v0, s17, v5
	s_add_i32 s10, s10, -1
	s_sub_i32 s0, 0, s16
	v_min_i32_e32 v0, s10, v0
	s_sub_i32 s10, s20, s22
	s_add_i32 s8, s16, s8
	s_max_i32 s21, s0, 0
	s_max_i32 s9, s16, 0
	v_add_u32_e32 v3, s10, v0
	v_max_i32_e32 v0, s16, v2
	s_add_i32 s8, s8, -1
	v_min_i32_e32 v0, s8, v0
	s_sub_i32 s8, s21, s9
	s_ashr_i32 s16, s19, 31
	s_add_i32 s18, s18, s7
	s_load_dwordx2 s[6:7], s[4:5], 0x0
	s_load_dwordx4 s[0:3], s[4:5], 0x38
	v_add_u32_e32 v0, s8, v0
	s_mul_i32 s8, s12, s16
	s_mul_hi_u32 s9, s12, s19
	s_add_i32 s8, s9, s8
	s_mul_i32 s9, s13, s19
	s_add_i32 s9, s8, s9
	s_mul_i32 s8, s12, s19
	s_lshl_b64 s[8:9], s[8:9], 1
	s_waitcnt lgkmcnt(0)
	s_add_u32 s8, s6, s8
	s_addc_u32 s9, s7, s9
	s_ashr_i32 s17, s18, 31
	v_subb_co_u32_e32 v6, vcc, v1, v4, vcc
	s_mul_i32 s6, s14, s17
	s_mul_hi_u32 s7, s14, s18
	v_ashrrev_i32_e32 v1, 31, v0
	s_add_i32 s6, s7, s6
	s_mul_i32 s7, s15, s18
	v_mul_lo_u32 v4, s0, v1
	v_mul_lo_u32 v7, s1, v0
	v_mad_u64_u32 v[0:1], s[0:1], s0, v0, 0
	s_add_i32 s7, s6, s7
	s_mul_i32 s6, s14, s18
	s_lshl_b64 s[0:1], s[6:7], 1
	s_add_u32 s6, s8, s0
	s_addc_u32 s0, s9, s1
	v_add3_u32 v1, v1, v4, v7
	v_ashrrev_i32_e32 v4, 31, v3
	v_mov_b32_e32 v7, s0
	v_mul_lo_u32 v8, s2, v4
	v_mul_lo_u32 v9, s3, v3
	v_mad_u64_u32 v[3:4], s[0:1], s2, v3, 0
	v_lshlrev_b64 v[0:1], 1, v[0:1]
	v_add_co_u32_e32 v10, vcc, s6, v0
	v_add3_u32 v4, v4, v8, v9
	v_addc_co_u32_e32 v7, vcc, v7, v1, vcc
	v_lshlrev_b64 v[0:1], 1, v[3:4]
	v_add_co_u32_e32 v0, vcc, v10, v0
	v_addc_co_u32_e32 v1, vcc, v7, v1, vcc
	global_load_ushort v4, v[0:1], off
	s_load_dwordx8 s[8:15], s[4:5], 0x70
	s_load_dwordx2 s[0:1], s[4:5], 0x48
	v_ashrrev_i32_e32 v0, 31, v2
	s_waitcnt lgkmcnt(0)
	s_mul_i32 s2, s8, s16
	s_mul_hi_u32 s3, s8, s19
	s_add_i32 s2, s3, s2
	s_mul_i32 s3, s9, s19
	s_add_i32 s3, s2, s3
	s_mul_i32 s2, s8, s19
	s_lshl_b64 s[2:3], s[2:3], 1
	s_add_u32 s4, s0, s2
	s_addc_u32 s5, s1, s3
	s_mul_i32 s0, s10, s17
	s_mul_hi_u32 s1, s10, s18
	s_add_i32 s0, s1, s0
	s_mul_i32 s1, s11, s18
	s_add_i32 s1, s0, s1
	s_mul_i32 s0, s10, s18
	v_mul_lo_u32 v3, s13, v2
	v_mul_lo_u32 v7, s12, v0
	v_mad_u64_u32 v[0:1], s[2:3], s12, v2, 0
	s_lshl_b64 s[0:1], s[0:1], 1
	s_add_u32 s2, s4, s0
	s_addc_u32 s0, s5, s1
	v_add3_u32 v1, v1, v7, v3
	v_mov_b32_e32 v7, s0
	v_mul_lo_u32 v8, s15, v5
	v_mul_lo_u32 v6, s14, v6
	v_mad_u64_u32 v[2:3], s[0:1], s14, v5, 0
	v_lshlrev_b64 v[0:1], 1, v[0:1]
	v_add_co_u32_e32 v5, vcc, s2, v0
	v_add3_u32 v3, v3, v6, v8
	v_addc_co_u32_e32 v7, vcc, v7, v1, vcc
	v_lshlrev_b64 v[0:1], 1, v[2:3]
	v_add_co_u32_e32 v0, vcc, v5, v0
	v_addc_co_u32_e32 v1, vcc, v7, v1, vcc
	s_waitcnt vmcnt(0)
	global_store_short v[0:1], v4, off
.LBB38_6:
	s_endpgm
	.section	.rodata,"a",@progbits
	.p2align	6, 0x0
	.amdhsa_kernel _ZN2at6native12_GLOBAL__N_132replication_pad_forward_kernel2dIN3c104HalfEEEvN5torch10headeronly6detail27GenericPackedTensorAccessorINS7_14TensorAccessorINS3_8ArrayRefIlEEKT_Lm3ENS6_16DefaultPtrTraitsElEENS_6detail16IndexBoundsCheckILm4ElEESD_Lm4ESE_lEENS8_INS9_ISB_SC_Lm3ESE_lEESI_SC_Lm4ESE_lEEiiii
		.amdhsa_group_segment_fixed_size 0
		.amdhsa_private_segment_fixed_size 0
		.amdhsa_kernarg_size 416
		.amdhsa_user_sgpr_count 6
		.amdhsa_user_sgpr_private_segment_buffer 1
		.amdhsa_user_sgpr_dispatch_ptr 0
		.amdhsa_user_sgpr_queue_ptr 0
		.amdhsa_user_sgpr_kernarg_segment_ptr 1
		.amdhsa_user_sgpr_dispatch_id 0
		.amdhsa_user_sgpr_flat_scratch_init 0
		.amdhsa_user_sgpr_private_segment_size 0
		.amdhsa_uses_dynamic_stack 0
		.amdhsa_system_sgpr_private_segment_wavefront_offset 0
		.amdhsa_system_sgpr_workgroup_id_x 1
		.amdhsa_system_sgpr_workgroup_id_y 1
		.amdhsa_system_sgpr_workgroup_id_z 1
		.amdhsa_system_sgpr_workgroup_info 0
		.amdhsa_system_vgpr_workitem_id 0
		.amdhsa_next_free_vgpr 13
		.amdhsa_next_free_sgpr 23
		.amdhsa_reserve_vcc 1
		.amdhsa_reserve_flat_scratch 0
		.amdhsa_float_round_mode_32 0
		.amdhsa_float_round_mode_16_64 0
		.amdhsa_float_denorm_mode_32 3
		.amdhsa_float_denorm_mode_16_64 3
		.amdhsa_dx10_clamp 1
		.amdhsa_ieee_mode 1
		.amdhsa_fp16_overflow 0
		.amdhsa_exception_fp_ieee_invalid_op 0
		.amdhsa_exception_fp_denorm_src 0
		.amdhsa_exception_fp_ieee_div_zero 0
		.amdhsa_exception_fp_ieee_overflow 0
		.amdhsa_exception_fp_ieee_underflow 0
		.amdhsa_exception_fp_ieee_inexact 0
		.amdhsa_exception_int_div_zero 0
	.end_amdhsa_kernel
	.section	.text._ZN2at6native12_GLOBAL__N_132replication_pad_forward_kernel2dIN3c104HalfEEEvN5torch10headeronly6detail27GenericPackedTensorAccessorINS7_14TensorAccessorINS3_8ArrayRefIlEEKT_Lm3ENS6_16DefaultPtrTraitsElEENS_6detail16IndexBoundsCheckILm4ElEESD_Lm4ESE_lEENS8_INS9_ISB_SC_Lm3ESE_lEESI_SC_Lm4ESE_lEEiiii,"axG",@progbits,_ZN2at6native12_GLOBAL__N_132replication_pad_forward_kernel2dIN3c104HalfEEEvN5torch10headeronly6detail27GenericPackedTensorAccessorINS7_14TensorAccessorINS3_8ArrayRefIlEEKT_Lm3ENS6_16DefaultPtrTraitsElEENS_6detail16IndexBoundsCheckILm4ElEESD_Lm4ESE_lEENS8_INS9_ISB_SC_Lm3ESE_lEESI_SC_Lm4ESE_lEEiiii,comdat
.Lfunc_end38:
	.size	_ZN2at6native12_GLOBAL__N_132replication_pad_forward_kernel2dIN3c104HalfEEEvN5torch10headeronly6detail27GenericPackedTensorAccessorINS7_14TensorAccessorINS3_8ArrayRefIlEEKT_Lm3ENS6_16DefaultPtrTraitsElEENS_6detail16IndexBoundsCheckILm4ElEESD_Lm4ESE_lEENS8_INS9_ISB_SC_Lm3ESE_lEESI_SC_Lm4ESE_lEEiiii, .Lfunc_end38-_ZN2at6native12_GLOBAL__N_132replication_pad_forward_kernel2dIN3c104HalfEEEvN5torch10headeronly6detail27GenericPackedTensorAccessorINS7_14TensorAccessorINS3_8ArrayRefIlEEKT_Lm3ENS6_16DefaultPtrTraitsElEENS_6detail16IndexBoundsCheckILm4ElEESD_Lm4ESE_lEENS8_INS9_ISB_SC_Lm3ESE_lEESI_SC_Lm4ESE_lEEiiii
                                        ; -- End function
	.set _ZN2at6native12_GLOBAL__N_132replication_pad_forward_kernel2dIN3c104HalfEEEvN5torch10headeronly6detail27GenericPackedTensorAccessorINS7_14TensorAccessorINS3_8ArrayRefIlEEKT_Lm3ENS6_16DefaultPtrTraitsElEENS_6detail16IndexBoundsCheckILm4ElEESD_Lm4ESE_lEENS8_INS9_ISB_SC_Lm3ESE_lEESI_SC_Lm4ESE_lEEiiii.num_vgpr, 13
	.set _ZN2at6native12_GLOBAL__N_132replication_pad_forward_kernel2dIN3c104HalfEEEvN5torch10headeronly6detail27GenericPackedTensorAccessorINS7_14TensorAccessorINS3_8ArrayRefIlEEKT_Lm3ENS6_16DefaultPtrTraitsElEENS_6detail16IndexBoundsCheckILm4ElEESD_Lm4ESE_lEENS8_INS9_ISB_SC_Lm3ESE_lEESI_SC_Lm4ESE_lEEiiii.num_agpr, 0
	.set _ZN2at6native12_GLOBAL__N_132replication_pad_forward_kernel2dIN3c104HalfEEEvN5torch10headeronly6detail27GenericPackedTensorAccessorINS7_14TensorAccessorINS3_8ArrayRefIlEEKT_Lm3ENS6_16DefaultPtrTraitsElEENS_6detail16IndexBoundsCheckILm4ElEESD_Lm4ESE_lEENS8_INS9_ISB_SC_Lm3ESE_lEESI_SC_Lm4ESE_lEEiiii.numbered_sgpr, 23
	.set _ZN2at6native12_GLOBAL__N_132replication_pad_forward_kernel2dIN3c104HalfEEEvN5torch10headeronly6detail27GenericPackedTensorAccessorINS7_14TensorAccessorINS3_8ArrayRefIlEEKT_Lm3ENS6_16DefaultPtrTraitsElEENS_6detail16IndexBoundsCheckILm4ElEESD_Lm4ESE_lEENS8_INS9_ISB_SC_Lm3ESE_lEESI_SC_Lm4ESE_lEEiiii.num_named_barrier, 0
	.set _ZN2at6native12_GLOBAL__N_132replication_pad_forward_kernel2dIN3c104HalfEEEvN5torch10headeronly6detail27GenericPackedTensorAccessorINS7_14TensorAccessorINS3_8ArrayRefIlEEKT_Lm3ENS6_16DefaultPtrTraitsElEENS_6detail16IndexBoundsCheckILm4ElEESD_Lm4ESE_lEENS8_INS9_ISB_SC_Lm3ESE_lEESI_SC_Lm4ESE_lEEiiii.private_seg_size, 0
	.set _ZN2at6native12_GLOBAL__N_132replication_pad_forward_kernel2dIN3c104HalfEEEvN5torch10headeronly6detail27GenericPackedTensorAccessorINS7_14TensorAccessorINS3_8ArrayRefIlEEKT_Lm3ENS6_16DefaultPtrTraitsElEENS_6detail16IndexBoundsCheckILm4ElEESD_Lm4ESE_lEENS8_INS9_ISB_SC_Lm3ESE_lEESI_SC_Lm4ESE_lEEiiii.uses_vcc, 1
	.set _ZN2at6native12_GLOBAL__N_132replication_pad_forward_kernel2dIN3c104HalfEEEvN5torch10headeronly6detail27GenericPackedTensorAccessorINS7_14TensorAccessorINS3_8ArrayRefIlEEKT_Lm3ENS6_16DefaultPtrTraitsElEENS_6detail16IndexBoundsCheckILm4ElEESD_Lm4ESE_lEENS8_INS9_ISB_SC_Lm3ESE_lEESI_SC_Lm4ESE_lEEiiii.uses_flat_scratch, 0
	.set _ZN2at6native12_GLOBAL__N_132replication_pad_forward_kernel2dIN3c104HalfEEEvN5torch10headeronly6detail27GenericPackedTensorAccessorINS7_14TensorAccessorINS3_8ArrayRefIlEEKT_Lm3ENS6_16DefaultPtrTraitsElEENS_6detail16IndexBoundsCheckILm4ElEESD_Lm4ESE_lEENS8_INS9_ISB_SC_Lm3ESE_lEESI_SC_Lm4ESE_lEEiiii.has_dyn_sized_stack, 0
	.set _ZN2at6native12_GLOBAL__N_132replication_pad_forward_kernel2dIN3c104HalfEEEvN5torch10headeronly6detail27GenericPackedTensorAccessorINS7_14TensorAccessorINS3_8ArrayRefIlEEKT_Lm3ENS6_16DefaultPtrTraitsElEENS_6detail16IndexBoundsCheckILm4ElEESD_Lm4ESE_lEENS8_INS9_ISB_SC_Lm3ESE_lEESI_SC_Lm4ESE_lEEiiii.has_recursion, 0
	.set _ZN2at6native12_GLOBAL__N_132replication_pad_forward_kernel2dIN3c104HalfEEEvN5torch10headeronly6detail27GenericPackedTensorAccessorINS7_14TensorAccessorINS3_8ArrayRefIlEEKT_Lm3ENS6_16DefaultPtrTraitsElEENS_6detail16IndexBoundsCheckILm4ElEESD_Lm4ESE_lEENS8_INS9_ISB_SC_Lm3ESE_lEESI_SC_Lm4ESE_lEEiiii.has_indirect_call, 0
	.section	.AMDGPU.csdata,"",@progbits
; Kernel info:
; codeLenInByte = 1396
; TotalNumSgprs: 27
; NumVgprs: 13
; ScratchSize: 0
; MemoryBound: 0
; FloatMode: 240
; IeeeMode: 1
; LDSByteSize: 0 bytes/workgroup (compile time only)
; SGPRBlocks: 3
; VGPRBlocks: 3
; NumSGPRsForWavesPerEU: 27
; NumVGPRsForWavesPerEU: 13
; Occupancy: 10
; WaveLimiterHint : 1
; COMPUTE_PGM_RSRC2:SCRATCH_EN: 0
; COMPUTE_PGM_RSRC2:USER_SGPR: 6
; COMPUTE_PGM_RSRC2:TRAP_HANDLER: 0
; COMPUTE_PGM_RSRC2:TGID_X_EN: 1
; COMPUTE_PGM_RSRC2:TGID_Y_EN: 1
; COMPUTE_PGM_RSRC2:TGID_Z_EN: 1
; COMPUTE_PGM_RSRC2:TIDIG_COMP_CNT: 0
	.section	.text._ZN2at6native12_GLOBAL__N_132replication_pad_forward_kernel2dIN3c108BFloat16EEEvN5torch10headeronly6detail27GenericPackedTensorAccessorINS7_14TensorAccessorINS3_8ArrayRefIlEEKT_Lm3ENS6_16DefaultPtrTraitsElEENS_6detail16IndexBoundsCheckILm4ElEESD_Lm4ESE_lEENS8_INS9_ISB_SC_Lm3ESE_lEESI_SC_Lm4ESE_lEEiiii,"axG",@progbits,_ZN2at6native12_GLOBAL__N_132replication_pad_forward_kernel2dIN3c108BFloat16EEEvN5torch10headeronly6detail27GenericPackedTensorAccessorINS7_14TensorAccessorINS3_8ArrayRefIlEEKT_Lm3ENS6_16DefaultPtrTraitsElEENS_6detail16IndexBoundsCheckILm4ElEESD_Lm4ESE_lEENS8_INS9_ISB_SC_Lm3ESE_lEESI_SC_Lm4ESE_lEEiiii,comdat
	.globl	_ZN2at6native12_GLOBAL__N_132replication_pad_forward_kernel2dIN3c108BFloat16EEEvN5torch10headeronly6detail27GenericPackedTensorAccessorINS7_14TensorAccessorINS3_8ArrayRefIlEEKT_Lm3ENS6_16DefaultPtrTraitsElEENS_6detail16IndexBoundsCheckILm4ElEESD_Lm4ESE_lEENS8_INS9_ISB_SC_Lm3ESE_lEESI_SC_Lm4ESE_lEEiiii ; -- Begin function _ZN2at6native12_GLOBAL__N_132replication_pad_forward_kernel2dIN3c108BFloat16EEEvN5torch10headeronly6detail27GenericPackedTensorAccessorINS7_14TensorAccessorINS3_8ArrayRefIlEEKT_Lm3ENS6_16DefaultPtrTraitsElEENS_6detail16IndexBoundsCheckILm4ElEESD_Lm4ESE_lEENS8_INS9_ISB_SC_Lm3ESE_lEESI_SC_Lm4ESE_lEEiiii
	.p2align	8
	.type	_ZN2at6native12_GLOBAL__N_132replication_pad_forward_kernel2dIN3c108BFloat16EEEvN5torch10headeronly6detail27GenericPackedTensorAccessorINS7_14TensorAccessorINS3_8ArrayRefIlEEKT_Lm3ENS6_16DefaultPtrTraitsElEENS_6detail16IndexBoundsCheckILm4ElEESD_Lm4ESE_lEENS8_INS9_ISB_SC_Lm3ESE_lEESI_SC_Lm4ESE_lEEiiii,@function
_ZN2at6native12_GLOBAL__N_132replication_pad_forward_kernel2dIN3c108BFloat16EEEvN5torch10headeronly6detail27GenericPackedTensorAccessorINS7_14TensorAccessorINS3_8ArrayRefIlEEKT_Lm3ENS6_16DefaultPtrTraitsElEENS_6detail16IndexBoundsCheckILm4ElEESD_Lm4ESE_lEENS8_INS9_ISB_SC_Lm3ESE_lEESI_SC_Lm4ESE_lEEiiii: ; @_ZN2at6native12_GLOBAL__N_132replication_pad_forward_kernel2dIN3c108BFloat16EEEvN5torch10headeronly6detail27GenericPackedTensorAccessorINS7_14TensorAccessorINS3_8ArrayRefIlEEKT_Lm3ENS6_16DefaultPtrTraitsElEENS_6detail16IndexBoundsCheckILm4ElEESD_Lm4ESE_lEENS8_INS9_ISB_SC_Lm3ESE_lEESI_SC_Lm4ESE_lEEiiii
; %bb.0:
	s_load_dword s9, s[4:5], 0xac
	s_load_dwordx4 s[0:3], s[4:5], 0x60
	s_waitcnt lgkmcnt(0)
	s_and_b32 s9, s9, 0xffff
	s_mul_i32 s6, s6, s9
	v_add_u32_e32 v0, s6, v0
	s_mul_i32 s1, s2, s1
	s_mul_hi_u32 s6, s2, s0
	s_add_i32 s1, s6, s1
	s_mul_i32 s6, s3, s0
	v_ashrrev_i32_e32 v1, 31, v0
	s_add_i32 s1, s1, s6
	s_mul_i32 s0, s2, s0
	v_cmp_gt_i64_e32 vcc, s[0:1], v[0:1]
	s_and_saveexec_b64 s[0:1], vcc
	s_cbranch_execz .LBB39_6
; %bb.1:
	v_or_b32_e32 v3, s3, v1
	v_mov_b32_e32 v2, 0
	v_cmp_ne_u64_e32 vcc, 0, v[2:3]
                                        ; implicit-def: $vgpr2_vgpr3
	s_and_saveexec_b64 s[0:1], vcc
	s_xor_b64 s[10:11], exec, s[0:1]
	s_cbranch_execz .LBB39_3
; %bb.2:
	s_ashr_i32 s12, s3, 31
	s_add_u32 s0, s2, s12
	s_mov_b32 s13, s12
	s_addc_u32 s1, s3, s12
	s_xor_b64 s[14:15], s[0:1], s[12:13]
	v_cvt_f32_u32_e32 v2, s14
	v_cvt_f32_u32_e32 v3, s15
	s_sub_u32 s6, 0, s14
	s_subb_u32 s9, 0, s15
	v_ashrrev_i32_e32 v6, 31, v1
	v_madmk_f32 v2, v3, 0x4f800000, v2
	v_rcp_f32_e32 v2, v2
	v_mul_f32_e32 v2, 0x5f7ffffc, v2
	v_mul_f32_e32 v3, 0x2f800000, v2
	v_trunc_f32_e32 v3, v3
	v_madmk_f32 v2, v3, 0xcf800000, v2
	v_cvt_u32_f32_e32 v3, v3
	v_cvt_u32_f32_e32 v2, v2
	v_readfirstlane_b32 s13, v3
	v_readfirstlane_b32 s0, v2
	s_mul_i32 s1, s6, s13
	s_mul_hi_u32 s17, s6, s0
	s_mul_i32 s16, s9, s0
	s_add_i32 s1, s17, s1
	s_add_i32 s1, s1, s16
	s_mul_i32 s18, s6, s0
	s_mul_i32 s17, s0, s1
	s_mul_hi_u32 s19, s0, s18
	s_mul_hi_u32 s16, s0, s1
	s_add_u32 s17, s19, s17
	s_addc_u32 s16, 0, s16
	s_mul_hi_u32 s20, s13, s18
	s_mul_i32 s18, s13, s18
	s_add_u32 s17, s17, s18
	s_mul_hi_u32 s19, s13, s1
	s_addc_u32 s16, s16, s20
	s_addc_u32 s17, s19, 0
	s_mul_i32 s1, s13, s1
	s_add_u32 s1, s16, s1
	s_addc_u32 s16, 0, s17
	s_add_u32 s17, s0, s1
	s_cselect_b64 s[0:1], -1, 0
	s_cmp_lg_u64 s[0:1], 0
	s_addc_u32 s13, s13, s16
	s_mul_i32 s0, s6, s13
	s_mul_hi_u32 s1, s6, s17
	s_add_i32 s0, s1, s0
	s_mul_i32 s9, s9, s17
	s_add_i32 s0, s0, s9
	s_mul_i32 s6, s6, s17
	s_mul_hi_u32 s9, s13, s6
	s_mul_i32 s16, s13, s6
	s_mul_i32 s19, s17, s0
	s_mul_hi_u32 s6, s17, s6
	s_mul_hi_u32 s18, s17, s0
	s_add_u32 s6, s6, s19
	s_addc_u32 s18, 0, s18
	s_add_u32 s6, s6, s16
	s_mul_hi_u32 s1, s13, s0
	s_addc_u32 s6, s18, s9
	s_addc_u32 s1, s1, 0
	s_mul_i32 s0, s13, s0
	s_add_u32 s0, s6, s0
	s_addc_u32 s6, 0, s1
	s_add_u32 s9, s17, s0
	s_cselect_b64 s[0:1], -1, 0
	s_cmp_lg_u64 s[0:1], 0
	v_add_co_u32_e32 v2, vcc, v0, v6
	s_addc_u32 s6, s13, s6
	v_xor_b32_e32 v7, v2, v6
	v_mad_u64_u32 v[2:3], s[0:1], v7, s6, 0
	v_mul_hi_u32 v5, v7, s9
	v_addc_co_u32_e32 v4, vcc, v1, v6, vcc
	v_xor_b32_e32 v8, v4, v6
	v_add_co_u32_e32 v9, vcc, v5, v2
	v_addc_co_u32_e32 v10, vcc, 0, v3, vcc
	v_mad_u64_u32 v[2:3], s[0:1], v8, s9, 0
	v_mad_u64_u32 v[4:5], s[0:1], v8, s6, 0
	v_add_co_u32_e32 v2, vcc, v9, v2
	v_addc_co_u32_e32 v2, vcc, v10, v3, vcc
	v_addc_co_u32_e32 v3, vcc, 0, v5, vcc
	v_add_co_u32_e32 v4, vcc, v2, v4
	v_addc_co_u32_e32 v5, vcc, 0, v3, vcc
	v_mul_lo_u32 v9, s15, v4
	v_mul_lo_u32 v10, s14, v5
	v_mad_u64_u32 v[2:3], s[0:1], s14, v4, 0
	v_add3_u32 v3, v3, v10, v9
	v_sub_u32_e32 v9, v8, v3
	v_mov_b32_e32 v10, s15
	v_sub_co_u32_e32 v2, vcc, v7, v2
	v_subb_co_u32_e64 v7, s[0:1], v9, v10, vcc
	v_subrev_co_u32_e64 v9, s[0:1], s14, v2
	v_subbrev_co_u32_e64 v7, s[0:1], 0, v7, s[0:1]
	v_cmp_le_u32_e64 s[0:1], s15, v7
	v_cndmask_b32_e64 v10, 0, -1, s[0:1]
	v_cmp_le_u32_e64 s[0:1], s14, v9
	v_cndmask_b32_e64 v9, 0, -1, s[0:1]
	v_cmp_eq_u32_e64 s[0:1], s15, v7
	v_cndmask_b32_e64 v7, v10, v9, s[0:1]
	v_add_co_u32_e64 v9, s[0:1], 2, v4
	v_subb_co_u32_e32 v3, vcc, v8, v3, vcc
	v_addc_co_u32_e64 v10, s[0:1], 0, v5, s[0:1]
	v_cmp_le_u32_e32 vcc, s15, v3
	v_add_co_u32_e64 v11, s[0:1], 1, v4
	v_cndmask_b32_e64 v8, 0, -1, vcc
	v_cmp_le_u32_e32 vcc, s14, v2
	v_addc_co_u32_e64 v12, s[0:1], 0, v5, s[0:1]
	v_cndmask_b32_e64 v2, 0, -1, vcc
	v_cmp_eq_u32_e32 vcc, s15, v3
	v_cmp_ne_u32_e64 s[0:1], 0, v7
	v_cndmask_b32_e32 v2, v8, v2, vcc
	v_cndmask_b32_e64 v7, v12, v10, s[0:1]
	v_cmp_ne_u32_e32 vcc, 0, v2
	v_cndmask_b32_e64 v3, v11, v9, s[0:1]
	v_cndmask_b32_e32 v2, v5, v7, vcc
	v_cndmask_b32_e32 v3, v4, v3, vcc
	v_xor_b32_e32 v4, s12, v6
	v_xor_b32_e32 v5, v2, v4
	;; [unrolled: 1-line block ×3, first 2 shown]
	v_sub_co_u32_e32 v2, vcc, v2, v4
	v_subb_co_u32_e32 v3, vcc, v5, v4, vcc
.LBB39_3:
	s_andn2_saveexec_b64 s[0:1], s[10:11]
	s_cbranch_execz .LBB39_5
; %bb.4:
	v_cvt_f32_u32_e32 v2, s2
	s_sub_i32 s6, 0, s2
	v_rcp_iflag_f32_e32 v2, v2
	v_mul_f32_e32 v2, 0x4f7ffffe, v2
	v_cvt_u32_f32_e32 v2, v2
	v_mul_lo_u32 v3, s6, v2
	v_mul_hi_u32 v3, v2, v3
	v_add_u32_e32 v2, v2, v3
	v_mul_hi_u32 v2, v0, v2
	v_mul_lo_u32 v3, v2, s2
	v_add_u32_e32 v4, 1, v2
	v_sub_u32_e32 v3, v0, v3
	v_subrev_u32_e32 v5, s2, v3
	v_cmp_le_u32_e32 vcc, s2, v3
	v_cndmask_b32_e32 v3, v3, v5, vcc
	v_cndmask_b32_e32 v2, v2, v4, vcc
	v_add_u32_e32 v4, 1, v2
	v_cmp_le_u32_e32 vcc, s2, v3
	v_cndmask_b32_e32 v2, v2, v4, vcc
	v_mov_b32_e32 v3, 0
.LBB39_5:
	s_or_b64 exec, exec, s[0:1]
	s_load_dwordx4 s[16:19], s[4:5], 0x90
	v_mul_lo_u32 v5, v3, s2
	v_mul_lo_u32 v6, v2, s3
	v_mad_u64_u32 v[3:4], s[0:1], v2, s2, 0
	s_waitcnt lgkmcnt(0)
	s_add_i32 s19, s19, s8
	s_load_dwordx8 s[8:15], s[4:5], 0x18
	v_add3_u32 v4, v4, v6, v5
	v_sub_co_u32_e32 v5, vcc, v0, v3
	s_sub_i32 s0, 0, s17
	s_waitcnt lgkmcnt(0)
	s_add_i32 s10, s17, s10
	s_max_i32 s20, s0, 0
	s_max_i32 s22, s17, 0
	v_max_i32_e32 v0, s17, v5
	s_add_i32 s10, s10, -1
	s_sub_i32 s0, 0, s16
	v_min_i32_e32 v0, s10, v0
	s_sub_i32 s10, s20, s22
	s_add_i32 s8, s16, s8
	s_max_i32 s21, s0, 0
	s_max_i32 s9, s16, 0
	v_add_u32_e32 v3, s10, v0
	v_max_i32_e32 v0, s16, v2
	s_add_i32 s8, s8, -1
	v_min_i32_e32 v0, s8, v0
	s_sub_i32 s8, s21, s9
	s_ashr_i32 s16, s19, 31
	s_add_i32 s18, s18, s7
	s_load_dwordx2 s[6:7], s[4:5], 0x0
	s_load_dwordx4 s[0:3], s[4:5], 0x38
	v_add_u32_e32 v0, s8, v0
	s_mul_i32 s8, s12, s16
	s_mul_hi_u32 s9, s12, s19
	s_add_i32 s8, s9, s8
	s_mul_i32 s9, s13, s19
	s_add_i32 s9, s8, s9
	s_mul_i32 s8, s12, s19
	s_lshl_b64 s[8:9], s[8:9], 1
	s_waitcnt lgkmcnt(0)
	s_add_u32 s8, s6, s8
	s_addc_u32 s9, s7, s9
	s_ashr_i32 s17, s18, 31
	v_subb_co_u32_e32 v6, vcc, v1, v4, vcc
	s_mul_i32 s6, s14, s17
	s_mul_hi_u32 s7, s14, s18
	v_ashrrev_i32_e32 v1, 31, v0
	s_add_i32 s6, s7, s6
	s_mul_i32 s7, s15, s18
	v_mul_lo_u32 v4, s0, v1
	v_mul_lo_u32 v7, s1, v0
	v_mad_u64_u32 v[0:1], s[0:1], s0, v0, 0
	s_add_i32 s7, s6, s7
	s_mul_i32 s6, s14, s18
	s_lshl_b64 s[0:1], s[6:7], 1
	s_add_u32 s6, s8, s0
	s_addc_u32 s0, s9, s1
	v_add3_u32 v1, v1, v4, v7
	v_ashrrev_i32_e32 v4, 31, v3
	v_mov_b32_e32 v7, s0
	v_mul_lo_u32 v8, s2, v4
	v_mul_lo_u32 v9, s3, v3
	v_mad_u64_u32 v[3:4], s[0:1], s2, v3, 0
	v_lshlrev_b64 v[0:1], 1, v[0:1]
	v_add_co_u32_e32 v10, vcc, s6, v0
	v_add3_u32 v4, v4, v8, v9
	v_addc_co_u32_e32 v7, vcc, v7, v1, vcc
	v_lshlrev_b64 v[0:1], 1, v[3:4]
	v_add_co_u32_e32 v0, vcc, v10, v0
	v_addc_co_u32_e32 v1, vcc, v7, v1, vcc
	global_load_ushort v4, v[0:1], off
	s_load_dwordx8 s[8:15], s[4:5], 0x70
	s_load_dwordx2 s[0:1], s[4:5], 0x48
	v_ashrrev_i32_e32 v0, 31, v2
	s_waitcnt lgkmcnt(0)
	s_mul_i32 s2, s8, s16
	s_mul_hi_u32 s3, s8, s19
	s_add_i32 s2, s3, s2
	s_mul_i32 s3, s9, s19
	s_add_i32 s3, s2, s3
	s_mul_i32 s2, s8, s19
	s_lshl_b64 s[2:3], s[2:3], 1
	s_add_u32 s4, s0, s2
	s_addc_u32 s5, s1, s3
	s_mul_i32 s0, s10, s17
	s_mul_hi_u32 s1, s10, s18
	s_add_i32 s0, s1, s0
	s_mul_i32 s1, s11, s18
	s_add_i32 s1, s0, s1
	s_mul_i32 s0, s10, s18
	v_mul_lo_u32 v3, s13, v2
	v_mul_lo_u32 v7, s12, v0
	v_mad_u64_u32 v[0:1], s[2:3], s12, v2, 0
	s_lshl_b64 s[0:1], s[0:1], 1
	s_add_u32 s2, s4, s0
	s_addc_u32 s0, s5, s1
	v_add3_u32 v1, v1, v7, v3
	v_mov_b32_e32 v7, s0
	v_mul_lo_u32 v8, s15, v5
	v_mul_lo_u32 v6, s14, v6
	v_mad_u64_u32 v[2:3], s[0:1], s14, v5, 0
	v_lshlrev_b64 v[0:1], 1, v[0:1]
	v_add_co_u32_e32 v5, vcc, s2, v0
	v_add3_u32 v3, v3, v6, v8
	v_addc_co_u32_e32 v7, vcc, v7, v1, vcc
	v_lshlrev_b64 v[0:1], 1, v[2:3]
	v_add_co_u32_e32 v0, vcc, v5, v0
	v_addc_co_u32_e32 v1, vcc, v7, v1, vcc
	s_waitcnt vmcnt(0)
	global_store_short v[0:1], v4, off
.LBB39_6:
	s_endpgm
	.section	.rodata,"a",@progbits
	.p2align	6, 0x0
	.amdhsa_kernel _ZN2at6native12_GLOBAL__N_132replication_pad_forward_kernel2dIN3c108BFloat16EEEvN5torch10headeronly6detail27GenericPackedTensorAccessorINS7_14TensorAccessorINS3_8ArrayRefIlEEKT_Lm3ENS6_16DefaultPtrTraitsElEENS_6detail16IndexBoundsCheckILm4ElEESD_Lm4ESE_lEENS8_INS9_ISB_SC_Lm3ESE_lEESI_SC_Lm4ESE_lEEiiii
		.amdhsa_group_segment_fixed_size 0
		.amdhsa_private_segment_fixed_size 0
		.amdhsa_kernarg_size 416
		.amdhsa_user_sgpr_count 6
		.amdhsa_user_sgpr_private_segment_buffer 1
		.amdhsa_user_sgpr_dispatch_ptr 0
		.amdhsa_user_sgpr_queue_ptr 0
		.amdhsa_user_sgpr_kernarg_segment_ptr 1
		.amdhsa_user_sgpr_dispatch_id 0
		.amdhsa_user_sgpr_flat_scratch_init 0
		.amdhsa_user_sgpr_private_segment_size 0
		.amdhsa_uses_dynamic_stack 0
		.amdhsa_system_sgpr_private_segment_wavefront_offset 0
		.amdhsa_system_sgpr_workgroup_id_x 1
		.amdhsa_system_sgpr_workgroup_id_y 1
		.amdhsa_system_sgpr_workgroup_id_z 1
		.amdhsa_system_sgpr_workgroup_info 0
		.amdhsa_system_vgpr_workitem_id 0
		.amdhsa_next_free_vgpr 13
		.amdhsa_next_free_sgpr 23
		.amdhsa_reserve_vcc 1
		.amdhsa_reserve_flat_scratch 0
		.amdhsa_float_round_mode_32 0
		.amdhsa_float_round_mode_16_64 0
		.amdhsa_float_denorm_mode_32 3
		.amdhsa_float_denorm_mode_16_64 3
		.amdhsa_dx10_clamp 1
		.amdhsa_ieee_mode 1
		.amdhsa_fp16_overflow 0
		.amdhsa_exception_fp_ieee_invalid_op 0
		.amdhsa_exception_fp_denorm_src 0
		.amdhsa_exception_fp_ieee_div_zero 0
		.amdhsa_exception_fp_ieee_overflow 0
		.amdhsa_exception_fp_ieee_underflow 0
		.amdhsa_exception_fp_ieee_inexact 0
		.amdhsa_exception_int_div_zero 0
	.end_amdhsa_kernel
	.section	.text._ZN2at6native12_GLOBAL__N_132replication_pad_forward_kernel2dIN3c108BFloat16EEEvN5torch10headeronly6detail27GenericPackedTensorAccessorINS7_14TensorAccessorINS3_8ArrayRefIlEEKT_Lm3ENS6_16DefaultPtrTraitsElEENS_6detail16IndexBoundsCheckILm4ElEESD_Lm4ESE_lEENS8_INS9_ISB_SC_Lm3ESE_lEESI_SC_Lm4ESE_lEEiiii,"axG",@progbits,_ZN2at6native12_GLOBAL__N_132replication_pad_forward_kernel2dIN3c108BFloat16EEEvN5torch10headeronly6detail27GenericPackedTensorAccessorINS7_14TensorAccessorINS3_8ArrayRefIlEEKT_Lm3ENS6_16DefaultPtrTraitsElEENS_6detail16IndexBoundsCheckILm4ElEESD_Lm4ESE_lEENS8_INS9_ISB_SC_Lm3ESE_lEESI_SC_Lm4ESE_lEEiiii,comdat
.Lfunc_end39:
	.size	_ZN2at6native12_GLOBAL__N_132replication_pad_forward_kernel2dIN3c108BFloat16EEEvN5torch10headeronly6detail27GenericPackedTensorAccessorINS7_14TensorAccessorINS3_8ArrayRefIlEEKT_Lm3ENS6_16DefaultPtrTraitsElEENS_6detail16IndexBoundsCheckILm4ElEESD_Lm4ESE_lEENS8_INS9_ISB_SC_Lm3ESE_lEESI_SC_Lm4ESE_lEEiiii, .Lfunc_end39-_ZN2at6native12_GLOBAL__N_132replication_pad_forward_kernel2dIN3c108BFloat16EEEvN5torch10headeronly6detail27GenericPackedTensorAccessorINS7_14TensorAccessorINS3_8ArrayRefIlEEKT_Lm3ENS6_16DefaultPtrTraitsElEENS_6detail16IndexBoundsCheckILm4ElEESD_Lm4ESE_lEENS8_INS9_ISB_SC_Lm3ESE_lEESI_SC_Lm4ESE_lEEiiii
                                        ; -- End function
	.set _ZN2at6native12_GLOBAL__N_132replication_pad_forward_kernel2dIN3c108BFloat16EEEvN5torch10headeronly6detail27GenericPackedTensorAccessorINS7_14TensorAccessorINS3_8ArrayRefIlEEKT_Lm3ENS6_16DefaultPtrTraitsElEENS_6detail16IndexBoundsCheckILm4ElEESD_Lm4ESE_lEENS8_INS9_ISB_SC_Lm3ESE_lEESI_SC_Lm4ESE_lEEiiii.num_vgpr, 13
	.set _ZN2at6native12_GLOBAL__N_132replication_pad_forward_kernel2dIN3c108BFloat16EEEvN5torch10headeronly6detail27GenericPackedTensorAccessorINS7_14TensorAccessorINS3_8ArrayRefIlEEKT_Lm3ENS6_16DefaultPtrTraitsElEENS_6detail16IndexBoundsCheckILm4ElEESD_Lm4ESE_lEENS8_INS9_ISB_SC_Lm3ESE_lEESI_SC_Lm4ESE_lEEiiii.num_agpr, 0
	.set _ZN2at6native12_GLOBAL__N_132replication_pad_forward_kernel2dIN3c108BFloat16EEEvN5torch10headeronly6detail27GenericPackedTensorAccessorINS7_14TensorAccessorINS3_8ArrayRefIlEEKT_Lm3ENS6_16DefaultPtrTraitsElEENS_6detail16IndexBoundsCheckILm4ElEESD_Lm4ESE_lEENS8_INS9_ISB_SC_Lm3ESE_lEESI_SC_Lm4ESE_lEEiiii.numbered_sgpr, 23
	.set _ZN2at6native12_GLOBAL__N_132replication_pad_forward_kernel2dIN3c108BFloat16EEEvN5torch10headeronly6detail27GenericPackedTensorAccessorINS7_14TensorAccessorINS3_8ArrayRefIlEEKT_Lm3ENS6_16DefaultPtrTraitsElEENS_6detail16IndexBoundsCheckILm4ElEESD_Lm4ESE_lEENS8_INS9_ISB_SC_Lm3ESE_lEESI_SC_Lm4ESE_lEEiiii.num_named_barrier, 0
	.set _ZN2at6native12_GLOBAL__N_132replication_pad_forward_kernel2dIN3c108BFloat16EEEvN5torch10headeronly6detail27GenericPackedTensorAccessorINS7_14TensorAccessorINS3_8ArrayRefIlEEKT_Lm3ENS6_16DefaultPtrTraitsElEENS_6detail16IndexBoundsCheckILm4ElEESD_Lm4ESE_lEENS8_INS9_ISB_SC_Lm3ESE_lEESI_SC_Lm4ESE_lEEiiii.private_seg_size, 0
	.set _ZN2at6native12_GLOBAL__N_132replication_pad_forward_kernel2dIN3c108BFloat16EEEvN5torch10headeronly6detail27GenericPackedTensorAccessorINS7_14TensorAccessorINS3_8ArrayRefIlEEKT_Lm3ENS6_16DefaultPtrTraitsElEENS_6detail16IndexBoundsCheckILm4ElEESD_Lm4ESE_lEENS8_INS9_ISB_SC_Lm3ESE_lEESI_SC_Lm4ESE_lEEiiii.uses_vcc, 1
	.set _ZN2at6native12_GLOBAL__N_132replication_pad_forward_kernel2dIN3c108BFloat16EEEvN5torch10headeronly6detail27GenericPackedTensorAccessorINS7_14TensorAccessorINS3_8ArrayRefIlEEKT_Lm3ENS6_16DefaultPtrTraitsElEENS_6detail16IndexBoundsCheckILm4ElEESD_Lm4ESE_lEENS8_INS9_ISB_SC_Lm3ESE_lEESI_SC_Lm4ESE_lEEiiii.uses_flat_scratch, 0
	.set _ZN2at6native12_GLOBAL__N_132replication_pad_forward_kernel2dIN3c108BFloat16EEEvN5torch10headeronly6detail27GenericPackedTensorAccessorINS7_14TensorAccessorINS3_8ArrayRefIlEEKT_Lm3ENS6_16DefaultPtrTraitsElEENS_6detail16IndexBoundsCheckILm4ElEESD_Lm4ESE_lEENS8_INS9_ISB_SC_Lm3ESE_lEESI_SC_Lm4ESE_lEEiiii.has_dyn_sized_stack, 0
	.set _ZN2at6native12_GLOBAL__N_132replication_pad_forward_kernel2dIN3c108BFloat16EEEvN5torch10headeronly6detail27GenericPackedTensorAccessorINS7_14TensorAccessorINS3_8ArrayRefIlEEKT_Lm3ENS6_16DefaultPtrTraitsElEENS_6detail16IndexBoundsCheckILm4ElEESD_Lm4ESE_lEENS8_INS9_ISB_SC_Lm3ESE_lEESI_SC_Lm4ESE_lEEiiii.has_recursion, 0
	.set _ZN2at6native12_GLOBAL__N_132replication_pad_forward_kernel2dIN3c108BFloat16EEEvN5torch10headeronly6detail27GenericPackedTensorAccessorINS7_14TensorAccessorINS3_8ArrayRefIlEEKT_Lm3ENS6_16DefaultPtrTraitsElEENS_6detail16IndexBoundsCheckILm4ElEESD_Lm4ESE_lEENS8_INS9_ISB_SC_Lm3ESE_lEESI_SC_Lm4ESE_lEEiiii.has_indirect_call, 0
	.section	.AMDGPU.csdata,"",@progbits
; Kernel info:
; codeLenInByte = 1396
; TotalNumSgprs: 27
; NumVgprs: 13
; ScratchSize: 0
; MemoryBound: 0
; FloatMode: 240
; IeeeMode: 1
; LDSByteSize: 0 bytes/workgroup (compile time only)
; SGPRBlocks: 3
; VGPRBlocks: 3
; NumSGPRsForWavesPerEU: 27
; NumVGPRsForWavesPerEU: 13
; Occupancy: 10
; WaveLimiterHint : 1
; COMPUTE_PGM_RSRC2:SCRATCH_EN: 0
; COMPUTE_PGM_RSRC2:USER_SGPR: 6
; COMPUTE_PGM_RSRC2:TRAP_HANDLER: 0
; COMPUTE_PGM_RSRC2:TGID_X_EN: 1
; COMPUTE_PGM_RSRC2:TGID_Y_EN: 1
; COMPUTE_PGM_RSRC2:TGID_Z_EN: 1
; COMPUTE_PGM_RSRC2:TIDIG_COMP_CNT: 0
	.section	.text._ZN2at6native12_GLOBAL__N_132replication_pad_forward_kernel3dIhEEvN5torch10headeronly6detail27GenericPackedTensorAccessorINS5_14TensorAccessorIN3c108ArrayRefIlEEKT_Lm4ENS4_16DefaultPtrTraitsElEENS_6detail16IndexBoundsCheckILm5ElEESC_Lm5ESD_lEENS6_INS7_ISA_SB_Lm4ESD_lEESH_SB_Lm5ESD_lEEiiiii,"axG",@progbits,_ZN2at6native12_GLOBAL__N_132replication_pad_forward_kernel3dIhEEvN5torch10headeronly6detail27GenericPackedTensorAccessorINS5_14TensorAccessorIN3c108ArrayRefIlEEKT_Lm4ENS4_16DefaultPtrTraitsElEENS_6detail16IndexBoundsCheckILm5ElEESC_Lm5ESD_lEENS6_INS7_ISA_SB_Lm4ESD_lEESH_SB_Lm5ESD_lEEiiiii,comdat
	.globl	_ZN2at6native12_GLOBAL__N_132replication_pad_forward_kernel3dIhEEvN5torch10headeronly6detail27GenericPackedTensorAccessorINS5_14TensorAccessorIN3c108ArrayRefIlEEKT_Lm4ENS4_16DefaultPtrTraitsElEENS_6detail16IndexBoundsCheckILm5ElEESC_Lm5ESD_lEENS6_INS7_ISA_SB_Lm4ESD_lEESH_SB_Lm5ESD_lEEiiiii ; -- Begin function _ZN2at6native12_GLOBAL__N_132replication_pad_forward_kernel3dIhEEvN5torch10headeronly6detail27GenericPackedTensorAccessorINS5_14TensorAccessorIN3c108ArrayRefIlEEKT_Lm4ENS4_16DefaultPtrTraitsElEENS_6detail16IndexBoundsCheckILm5ElEESC_Lm5ESD_lEENS6_INS7_ISA_SB_Lm4ESD_lEESH_SB_Lm5ESD_lEEiiiii
	.p2align	8
	.type	_ZN2at6native12_GLOBAL__N_132replication_pad_forward_kernel3dIhEEvN5torch10headeronly6detail27GenericPackedTensorAccessorINS5_14TensorAccessorIN3c108ArrayRefIlEEKT_Lm4ENS4_16DefaultPtrTraitsElEENS_6detail16IndexBoundsCheckILm5ElEESC_Lm5ESD_lEENS6_INS7_ISA_SB_Lm4ESD_lEESH_SB_Lm5ESD_lEEiiiii,@function
_ZN2at6native12_GLOBAL__N_132replication_pad_forward_kernel3dIhEEvN5torch10headeronly6detail27GenericPackedTensorAccessorINS5_14TensorAccessorIN3c108ArrayRefIlEEKT_Lm4ENS4_16DefaultPtrTraitsElEENS_6detail16IndexBoundsCheckILm5ElEESC_Lm5ESD_lEENS6_INS7_ISA_SB_Lm4ESD_lEESH_SB_Lm5ESD_lEEiiiii: ; @_ZN2at6native12_GLOBAL__N_132replication_pad_forward_kernel3dIhEEvN5torch10headeronly6detail27GenericPackedTensorAccessorINS5_14TensorAccessorIN3c108ArrayRefIlEEKT_Lm4ENS4_16DefaultPtrTraitsElEENS_6detail16IndexBoundsCheckILm5ElEESC_Lm5ESD_lEENS6_INS7_ISA_SB_Lm4ESD_lEESH_SB_Lm5ESD_lEEiiiii
; %bb.0:
	s_load_dword s9, s[4:5], 0xd4
	s_load_dwordx4 s[0:3], s[4:5], 0x70
	s_load_dwordx2 s[10:11], s[4:5], 0x80
	s_waitcnt lgkmcnt(0)
	s_and_b32 s9, s9, 0xffff
	s_mul_i32 s6, s6, s9
	v_add_u32_e32 v0, s6, v0
	s_mul_i32 s6, s10, s3
	s_mul_hi_u32 s9, s10, s2
	s_add_i32 s9, s9, s6
	s_mul_i32 s6, s11, s2
	s_add_i32 s9, s9, s6
	s_mul_i32 s6, s10, s2
	s_mul_i32 s1, s6, s1
	s_mul_hi_u32 s12, s6, s0
	s_add_i32 s1, s12, s1
	s_mul_i32 s12, s9, s0
	v_ashrrev_i32_e32 v1, 31, v0
	s_add_i32 s1, s1, s12
	s_mul_i32 s0, s6, s0
	v_cmp_gt_i64_e32 vcc, s[0:1], v[0:1]
	s_and_saveexec_b64 s[0:1], vcc
	s_cbranch_execz .LBB40_14
; %bb.1:
	v_or_b32_e32 v3, s11, v1
	v_mov_b32_e32 v2, 0
	v_cmp_ne_u64_e32 vcc, 0, v[2:3]
	v_ashrrev_i32_e32 v7, 31, v1
                                        ; implicit-def: $vgpr2_vgpr3
	s_and_saveexec_b64 s[0:1], vcc
	s_xor_b64 s[12:13], exec, s[0:1]
	s_cbranch_execz .LBB40_3
; %bb.2:
	s_ashr_i32 s14, s11, 31
	s_add_u32 s0, s10, s14
	s_mov_b32 s15, s14
	s_addc_u32 s1, s11, s14
	s_xor_b64 s[16:17], s[0:1], s[14:15]
	v_cvt_f32_u32_e32 v2, s16
	v_cvt_f32_u32_e32 v3, s17
	s_sub_u32 s15, 0, s16
	s_subb_u32 s18, 0, s17
	v_madmk_f32 v2, v3, 0x4f800000, v2
	v_rcp_f32_e32 v2, v2
	v_mul_f32_e32 v2, 0x5f7ffffc, v2
	v_mul_f32_e32 v3, 0x2f800000, v2
	v_trunc_f32_e32 v3, v3
	v_madmk_f32 v2, v3, 0xcf800000, v2
	v_cvt_u32_f32_e32 v3, v3
	v_cvt_u32_f32_e32 v2, v2
	v_readfirstlane_b32 s19, v3
	v_readfirstlane_b32 s0, v2
	s_mul_i32 s1, s15, s19
	s_mul_hi_u32 s21, s15, s0
	s_mul_i32 s20, s18, s0
	s_add_i32 s1, s21, s1
	s_add_i32 s1, s1, s20
	s_mul_i32 s22, s15, s0
	s_mul_i32 s21, s0, s1
	s_mul_hi_u32 s23, s0, s22
	s_mul_hi_u32 s20, s0, s1
	s_add_u32 s21, s23, s21
	s_addc_u32 s20, 0, s20
	s_mul_hi_u32 s24, s19, s22
	s_mul_i32 s22, s19, s22
	s_add_u32 s21, s21, s22
	s_mul_hi_u32 s23, s19, s1
	s_addc_u32 s20, s20, s24
	s_addc_u32 s21, s23, 0
	s_mul_i32 s1, s19, s1
	s_add_u32 s1, s20, s1
	s_addc_u32 s20, 0, s21
	s_add_u32 s21, s0, s1
	s_cselect_b64 s[0:1], -1, 0
	s_cmp_lg_u64 s[0:1], 0
	s_addc_u32 s19, s19, s20
	s_mul_i32 s0, s15, s19
	s_mul_hi_u32 s1, s15, s21
	s_add_i32 s0, s1, s0
	s_mul_i32 s18, s18, s21
	s_add_i32 s0, s0, s18
	s_mul_i32 s15, s15, s21
	s_mul_hi_u32 s18, s19, s15
	s_mul_i32 s20, s19, s15
	s_mul_i32 s23, s21, s0
	s_mul_hi_u32 s15, s21, s15
	s_mul_hi_u32 s22, s21, s0
	s_add_u32 s15, s15, s23
	s_addc_u32 s22, 0, s22
	s_add_u32 s15, s15, s20
	s_mul_hi_u32 s1, s19, s0
	s_addc_u32 s15, s22, s18
	s_addc_u32 s1, s1, 0
	s_mul_i32 s0, s19, s0
	s_add_u32 s0, s15, s0
	s_addc_u32 s15, 0, s1
	s_add_u32 s18, s21, s0
	s_cselect_b64 s[0:1], -1, 0
	s_cmp_lg_u64 s[0:1], 0
	v_add_co_u32_e32 v2, vcc, v0, v7
	s_addc_u32 s15, s19, s15
	v_xor_b32_e32 v6, v2, v7
	v_mad_u64_u32 v[2:3], s[0:1], v6, s15, 0
	v_mul_hi_u32 v5, v6, s18
	v_addc_co_u32_e32 v4, vcc, v1, v7, vcc
	v_xor_b32_e32 v8, v4, v7
	v_add_co_u32_e32 v9, vcc, v5, v2
	v_addc_co_u32_e32 v10, vcc, 0, v3, vcc
	v_mad_u64_u32 v[2:3], s[0:1], v8, s18, 0
	v_mad_u64_u32 v[4:5], s[0:1], v8, s15, 0
	v_add_co_u32_e32 v2, vcc, v9, v2
	v_addc_co_u32_e32 v2, vcc, v10, v3, vcc
	v_addc_co_u32_e32 v3, vcc, 0, v5, vcc
	v_add_co_u32_e32 v4, vcc, v2, v4
	v_addc_co_u32_e32 v5, vcc, 0, v3, vcc
	v_mul_lo_u32 v9, s17, v4
	v_mul_lo_u32 v10, s16, v5
	v_mad_u64_u32 v[2:3], s[0:1], s16, v4, 0
	v_add3_u32 v3, v3, v10, v9
	v_sub_u32_e32 v9, v8, v3
	v_mov_b32_e32 v10, s17
	v_sub_co_u32_e32 v2, vcc, v6, v2
	v_subb_co_u32_e64 v6, s[0:1], v9, v10, vcc
	v_subrev_co_u32_e64 v9, s[0:1], s16, v2
	v_subbrev_co_u32_e64 v6, s[0:1], 0, v6, s[0:1]
	v_cmp_le_u32_e64 s[0:1], s17, v6
	v_cndmask_b32_e64 v10, 0, -1, s[0:1]
	v_cmp_le_u32_e64 s[0:1], s16, v9
	v_cndmask_b32_e64 v9, 0, -1, s[0:1]
	v_cmp_eq_u32_e64 s[0:1], s17, v6
	v_cndmask_b32_e64 v6, v10, v9, s[0:1]
	v_add_co_u32_e64 v9, s[0:1], 2, v4
	v_subb_co_u32_e32 v3, vcc, v8, v3, vcc
	v_addc_co_u32_e64 v10, s[0:1], 0, v5, s[0:1]
	v_cmp_le_u32_e32 vcc, s17, v3
	v_add_co_u32_e64 v11, s[0:1], 1, v4
	v_cndmask_b32_e64 v8, 0, -1, vcc
	v_cmp_le_u32_e32 vcc, s16, v2
	v_addc_co_u32_e64 v12, s[0:1], 0, v5, s[0:1]
	v_cndmask_b32_e64 v2, 0, -1, vcc
	v_cmp_eq_u32_e32 vcc, s17, v3
	v_cmp_ne_u32_e64 s[0:1], 0, v6
	v_cndmask_b32_e32 v2, v8, v2, vcc
	v_cndmask_b32_e64 v6, v12, v10, s[0:1]
	v_cmp_ne_u32_e32 vcc, 0, v2
	v_cndmask_b32_e64 v3, v11, v9, s[0:1]
	v_cndmask_b32_e32 v2, v5, v6, vcc
	v_cndmask_b32_e32 v3, v4, v3, vcc
	v_xor_b32_e32 v4, s14, v7
	v_xor_b32_e32 v5, v2, v4
	;; [unrolled: 1-line block ×3, first 2 shown]
	v_sub_co_u32_e32 v2, vcc, v2, v4
	v_subb_co_u32_e32 v3, vcc, v5, v4, vcc
.LBB40_3:
	s_andn2_saveexec_b64 s[0:1], s[12:13]
	s_cbranch_execz .LBB40_5
; %bb.4:
	v_cvt_f32_u32_e32 v2, s10
	s_sub_i32 s12, 0, s10
	v_rcp_iflag_f32_e32 v2, v2
	v_mul_f32_e32 v2, 0x4f7ffffe, v2
	v_cvt_u32_f32_e32 v2, v2
	v_mul_lo_u32 v3, s12, v2
	v_mul_hi_u32 v3, v2, v3
	v_add_u32_e32 v2, v2, v3
	v_mul_hi_u32 v2, v0, v2
	v_mul_lo_u32 v3, v2, s10
	v_add_u32_e32 v4, 1, v2
	v_sub_u32_e32 v3, v0, v3
	v_subrev_u32_e32 v5, s10, v3
	v_cmp_le_u32_e32 vcc, s10, v3
	v_cndmask_b32_e32 v3, v3, v5, vcc
	v_cndmask_b32_e32 v2, v2, v4, vcc
	v_add_u32_e32 v4, 1, v2
	v_cmp_le_u32_e32 vcc, s10, v3
	v_cndmask_b32_e32 v2, v2, v4, vcc
	v_mov_b32_e32 v3, 0
.LBB40_5:
	s_or_b64 exec, exec, s[0:1]
	v_or_b32_e32 v5, s3, v3
	v_mov_b32_e32 v4, 0
	v_cmp_ne_u64_e32 vcc, 0, v[4:5]
                                        ; implicit-def: $vgpr4_vgpr5
	s_and_saveexec_b64 s[0:1], vcc
	s_xor_b64 s[12:13], exec, s[0:1]
	s_cbranch_execz .LBB40_7
; %bb.6:
	s_ashr_i32 s0, s3, 31
	s_add_u32 s14, s2, s0
	s_mov_b32 s1, s0
	s_addc_u32 s15, s3, s0
	s_xor_b64 s[14:15], s[14:15], s[0:1]
	v_cvt_f32_u32_e32 v4, s14
	v_cvt_f32_u32_e32 v5, s15
	s_sub_u32 s3, 0, s14
	s_subb_u32 s16, 0, s15
	v_ashrrev_i32_e32 v6, 31, v3
	v_madmk_f32 v4, v5, 0x4f800000, v4
	v_rcp_f32_e32 v4, v4
	v_mul_f32_e32 v4, 0x5f7ffffc, v4
	v_mul_f32_e32 v5, 0x2f800000, v4
	v_trunc_f32_e32 v5, v5
	v_madmk_f32 v4, v5, 0xcf800000, v4
	v_cvt_u32_f32_e32 v5, v5
	v_cvt_u32_f32_e32 v4, v4
	v_readfirstlane_b32 s17, v5
	v_readfirstlane_b32 s0, v4
	s_mul_i32 s1, s3, s17
	s_mul_hi_u32 s19, s3, s0
	s_mul_i32 s18, s16, s0
	s_add_i32 s1, s19, s1
	s_add_i32 s1, s1, s18
	s_mul_i32 s20, s3, s0
	s_mul_i32 s19, s0, s1
	s_mul_hi_u32 s21, s0, s20
	s_mul_hi_u32 s18, s0, s1
	s_add_u32 s19, s21, s19
	s_addc_u32 s18, 0, s18
	s_mul_hi_u32 s22, s17, s20
	s_mul_i32 s20, s17, s20
	s_add_u32 s19, s19, s20
	s_mul_hi_u32 s21, s17, s1
	s_addc_u32 s18, s18, s22
	s_addc_u32 s19, s21, 0
	s_mul_i32 s1, s17, s1
	s_add_u32 s1, s18, s1
	s_addc_u32 s18, 0, s19
	s_add_u32 s19, s0, s1
	s_cselect_b64 s[0:1], -1, 0
	s_cmp_lg_u64 s[0:1], 0
	s_addc_u32 s17, s17, s18
	s_mul_i32 s0, s3, s17
	s_mul_hi_u32 s1, s3, s19
	s_add_i32 s0, s1, s0
	s_mul_i32 s16, s16, s19
	s_add_i32 s0, s0, s16
	s_mul_i32 s3, s3, s19
	s_mul_hi_u32 s16, s17, s3
	s_mul_i32 s18, s17, s3
	s_mul_i32 s21, s19, s0
	s_mul_hi_u32 s3, s19, s3
	s_mul_hi_u32 s20, s19, s0
	s_add_u32 s3, s3, s21
	s_addc_u32 s20, 0, s20
	s_add_u32 s3, s3, s18
	s_mul_hi_u32 s1, s17, s0
	s_addc_u32 s3, s20, s16
	s_addc_u32 s1, s1, 0
	s_mul_i32 s0, s17, s0
	s_add_u32 s0, s3, s0
	s_addc_u32 s3, 0, s1
	s_add_u32 s16, s19, s0
	s_cselect_b64 s[0:1], -1, 0
	s_cmp_lg_u64 s[0:1], 0
	v_add_co_u32_e32 v4, vcc, v2, v6
	s_addc_u32 s3, s17, s3
	v_xor_b32_e32 v10, v4, v6
	v_mad_u64_u32 v[4:5], s[0:1], v10, s3, 0
	v_mul_hi_u32 v9, v10, s16
	v_addc_co_u32_e32 v8, vcc, v3, v6, vcc
	v_xor_b32_e32 v11, v8, v6
	v_add_co_u32_e32 v12, vcc, v9, v4
	v_addc_co_u32_e32 v13, vcc, 0, v5, vcc
	v_mad_u64_u32 v[4:5], s[0:1], v11, s16, 0
	v_mad_u64_u32 v[8:9], s[0:1], v11, s3, 0
	v_add_co_u32_e32 v4, vcc, v12, v4
	v_addc_co_u32_e32 v4, vcc, v13, v5, vcc
	v_addc_co_u32_e32 v5, vcc, 0, v9, vcc
	v_add_co_u32_e32 v4, vcc, v4, v8
	v_addc_co_u32_e32 v5, vcc, 0, v5, vcc
	v_mul_lo_u32 v8, s15, v4
	v_mul_lo_u32 v9, s14, v5
	v_mad_u64_u32 v[4:5], s[0:1], s14, v4, 0
	v_add3_u32 v5, v5, v9, v8
	v_sub_u32_e32 v8, v11, v5
	v_mov_b32_e32 v9, s15
	v_sub_co_u32_e32 v4, vcc, v10, v4
	v_subb_co_u32_e64 v8, s[0:1], v8, v9, vcc
	v_subrev_co_u32_e64 v9, s[0:1], s14, v4
	v_subbrev_co_u32_e64 v8, s[0:1], 0, v8, s[0:1]
	v_cmp_le_u32_e64 s[0:1], s15, v8
	v_subb_co_u32_e32 v5, vcc, v11, v5, vcc
	v_cndmask_b32_e64 v10, 0, -1, s[0:1]
	v_cmp_le_u32_e64 s[0:1], s14, v9
	v_cmp_le_u32_e32 vcc, s15, v5
	v_cndmask_b32_e64 v12, 0, -1, s[0:1]
	v_cmp_eq_u32_e64 s[0:1], s15, v8
	v_cndmask_b32_e64 v11, 0, -1, vcc
	v_cmp_le_u32_e32 vcc, s14, v4
	v_cndmask_b32_e64 v8, v10, v12, s[0:1]
	v_cndmask_b32_e64 v12, 0, -1, vcc
	v_cmp_eq_u32_e32 vcc, s15, v5
	v_subrev_co_u32_e64 v10, s[0:1], s14, v9
	v_cndmask_b32_e32 v5, v11, v12, vcc
	v_cmp_ne_u32_e32 vcc, 0, v8
	v_cndmask_b32_e32 v8, v9, v10, vcc
	v_cmp_ne_u32_e32 vcc, 0, v5
	v_cndmask_b32_e32 v4, v4, v8, vcc
	v_xor_b32_e32 v4, v4, v6
	v_sub_co_u32_e32 v4, vcc, v4, v6
.LBB40_7:
	s_andn2_saveexec_b64 s[0:1], s[12:13]
	s_cbranch_execz .LBB40_9
; %bb.8:
	v_cvt_f32_u32_e32 v4, s2
	s_sub_i32 s3, 0, s2
	v_rcp_iflag_f32_e32 v4, v4
	v_mul_f32_e32 v4, 0x4f7ffffe, v4
	v_cvt_u32_f32_e32 v4, v4
	v_mul_lo_u32 v5, s3, v4
	v_mul_hi_u32 v5, v4, v5
	v_add_u32_e32 v4, v4, v5
	v_mul_hi_u32 v4, v2, v4
	v_mul_lo_u32 v4, v4, s2
	v_sub_u32_e32 v4, v2, v4
	v_subrev_u32_e32 v5, s2, v4
	v_cmp_le_u32_e32 vcc, s2, v4
	v_cndmask_b32_e32 v4, v4, v5, vcc
	v_subrev_u32_e32 v5, s2, v4
	v_cmp_le_u32_e32 vcc, s2, v4
	v_cndmask_b32_e32 v4, v4, v5, vcc
.LBB40_9:
	s_or_b64 exec, exec, s[0:1]
	v_or_b32_e32 v6, s9, v1
	v_mov_b32_e32 v5, 0
	v_cmp_ne_u64_e32 vcc, 0, v[5:6]
                                        ; implicit-def: $vgpr5_vgpr6
	s_and_saveexec_b64 s[0:1], vcc
	s_xor_b64 s[2:3], exec, s[0:1]
	s_cbranch_execz .LBB40_11
; %bb.10:
	s_ashr_i32 s12, s9, 31
	s_add_u32 s0, s6, s12
	s_mov_b32 s13, s12
	s_addc_u32 s1, s9, s12
	s_xor_b64 s[14:15], s[0:1], s[12:13]
	v_cvt_f32_u32_e32 v5, s14
	v_cvt_f32_u32_e32 v6, s15
	s_sub_u32 s9, 0, s14
	s_subb_u32 s13, 0, s15
	v_madmk_f32 v5, v6, 0x4f800000, v5
	v_rcp_f32_e32 v5, v5
	v_mul_f32_e32 v5, 0x5f7ffffc, v5
	v_mul_f32_e32 v6, 0x2f800000, v5
	v_trunc_f32_e32 v6, v6
	v_madmk_f32 v5, v6, 0xcf800000, v5
	v_cvt_u32_f32_e32 v6, v6
	v_cvt_u32_f32_e32 v5, v5
	v_readfirstlane_b32 s16, v6
	v_readfirstlane_b32 s0, v5
	s_mul_i32 s1, s9, s16
	s_mul_hi_u32 s18, s9, s0
	s_mul_i32 s17, s13, s0
	s_add_i32 s1, s18, s1
	s_add_i32 s1, s1, s17
	s_mul_i32 s19, s9, s0
	s_mul_i32 s18, s0, s1
	s_mul_hi_u32 s20, s0, s19
	s_mul_hi_u32 s17, s0, s1
	s_add_u32 s18, s20, s18
	s_addc_u32 s17, 0, s17
	s_mul_hi_u32 s21, s16, s19
	s_mul_i32 s19, s16, s19
	s_add_u32 s18, s18, s19
	s_mul_hi_u32 s20, s16, s1
	s_addc_u32 s17, s17, s21
	s_addc_u32 s18, s20, 0
	s_mul_i32 s1, s16, s1
	s_add_u32 s1, s17, s1
	s_addc_u32 s17, 0, s18
	s_add_u32 s18, s0, s1
	s_cselect_b64 s[0:1], -1, 0
	s_cmp_lg_u64 s[0:1], 0
	s_addc_u32 s16, s16, s17
	s_mul_i32 s0, s9, s16
	s_mul_hi_u32 s1, s9, s18
	s_add_i32 s0, s1, s0
	s_mul_i32 s13, s13, s18
	s_add_i32 s0, s0, s13
	s_mul_i32 s9, s9, s18
	s_mul_hi_u32 s13, s16, s9
	s_mul_i32 s17, s16, s9
	s_mul_i32 s20, s18, s0
	s_mul_hi_u32 s9, s18, s9
	s_mul_hi_u32 s19, s18, s0
	s_add_u32 s9, s9, s20
	s_addc_u32 s19, 0, s19
	s_add_u32 s9, s9, s17
	s_mul_hi_u32 s1, s16, s0
	s_addc_u32 s9, s19, s13
	s_addc_u32 s1, s1, 0
	s_mul_i32 s0, s16, s0
	s_add_u32 s0, s9, s0
	s_addc_u32 s9, 0, s1
	s_add_u32 s13, s18, s0
	s_cselect_b64 s[0:1], -1, 0
	s_cmp_lg_u64 s[0:1], 0
	v_add_co_u32_e32 v5, vcc, v0, v7
	s_addc_u32 s9, s16, s9
	v_xor_b32_e32 v10, v5, v7
	v_mad_u64_u32 v[5:6], s[0:1], v10, s9, 0
	v_mul_hi_u32 v9, v10, s13
	v_addc_co_u32_e32 v8, vcc, v1, v7, vcc
	v_xor_b32_e32 v11, v8, v7
	v_add_co_u32_e32 v12, vcc, v9, v5
	v_addc_co_u32_e32 v13, vcc, 0, v6, vcc
	v_mad_u64_u32 v[5:6], s[0:1], v11, s13, 0
	v_mad_u64_u32 v[8:9], s[0:1], v11, s9, 0
	v_add_co_u32_e32 v5, vcc, v12, v5
	v_addc_co_u32_e32 v5, vcc, v13, v6, vcc
	v_addc_co_u32_e32 v6, vcc, 0, v9, vcc
	v_add_co_u32_e32 v8, vcc, v5, v8
	v_addc_co_u32_e32 v5, vcc, 0, v6, vcc
	v_mul_lo_u32 v9, s15, v8
	v_mul_lo_u32 v12, s14, v5
	v_mad_u64_u32 v[5:6], s[0:1], s14, v8, 0
	v_add3_u32 v6, v6, v12, v9
	v_sub_u32_e32 v9, v11, v6
	v_mov_b32_e32 v12, s15
	v_sub_co_u32_e32 v5, vcc, v10, v5
	v_subb_co_u32_e64 v9, s[0:1], v9, v12, vcc
	v_subrev_co_u32_e64 v10, s[0:1], s14, v5
	v_subbrev_co_u32_e64 v9, s[0:1], 0, v9, s[0:1]
	v_cmp_le_u32_e64 s[0:1], s15, v9
	v_subb_co_u32_e32 v6, vcc, v11, v6, vcc
	v_cndmask_b32_e64 v12, 0, -1, s[0:1]
	v_cmp_le_u32_e64 s[0:1], s14, v10
	v_cmp_le_u32_e32 vcc, s15, v6
	v_cndmask_b32_e64 v10, 0, -1, s[0:1]
	v_cmp_eq_u32_e64 s[0:1], s15, v9
	v_cndmask_b32_e64 v11, 0, -1, vcc
	v_cmp_le_u32_e32 vcc, s14, v5
	v_cndmask_b32_e64 v9, v12, v10, s[0:1]
	v_cndmask_b32_e64 v5, 0, -1, vcc
	v_cmp_eq_u32_e32 vcc, s15, v6
	v_add_co_u32_e64 v10, s[0:1], 2, v8
	v_add_co_u32_e64 v12, s[0:1], 1, v8
	v_cndmask_b32_e32 v5, v11, v5, vcc
	v_cmp_ne_u32_e32 vcc, 0, v9
	v_cndmask_b32_e32 v6, v12, v10, vcc
	v_cmp_ne_u32_e32 vcc, 0, v5
	v_cndmask_b32_e32 v5, v8, v6, vcc
	v_xor_b32_e32 v6, s12, v7
	v_xor_b32_e32 v5, v5, v6
	v_sub_co_u32_e32 v5, vcc, v5, v6
.LBB40_11:
	s_andn2_saveexec_b64 s[0:1], s[2:3]
	s_cbranch_execz .LBB40_13
; %bb.12:
	v_cvt_f32_u32_e32 v5, s6
	s_sub_i32 s2, 0, s6
	v_rcp_iflag_f32_e32 v5, v5
	v_mul_f32_e32 v5, 0x4f7ffffe, v5
	v_cvt_u32_f32_e32 v5, v5
	v_mul_lo_u32 v6, s2, v5
	v_mul_hi_u32 v6, v5, v6
	v_add_u32_e32 v5, v5, v6
	v_mul_hi_u32 v5, v0, v5
	v_mul_lo_u32 v6, v5, s6
	v_add_u32_e32 v7, 1, v5
	v_sub_u32_e32 v6, v0, v6
	v_subrev_u32_e32 v8, s6, v6
	v_cmp_le_u32_e32 vcc, s6, v6
	v_cndmask_b32_e32 v6, v6, v8, vcc
	v_cndmask_b32_e32 v5, v5, v7, vcc
	v_add_u32_e32 v7, 1, v5
	v_cmp_le_u32_e32 vcc, s6, v6
	v_cndmask_b32_e32 v5, v5, v7, vcc
.LBB40_13:
	s_or_b64 exec, exec, s[0:1]
	v_mul_lo_u32 v6, v3, s10
	v_mul_lo_u32 v7, v2, s11
	v_mad_u64_u32 v[2:3], s[0:1], v2, s10, 0
	s_load_dwordx4 s[0:3], s[4:5], 0xb0
	s_load_dword s6, s[4:5], 0xc0
	s_load_dwordx2 s[24:25], s[4:5], 0xa8
	v_sub_co_u32_e32 v0, vcc, v0, v2
	s_waitcnt lgkmcnt(0)
	v_max_i32_e32 v2, s0, v5
	s_add_i32 s26, s6, s8
	s_load_dwordx16 s[8:23], s[4:5], 0x18
	s_sub_i32 s6, 0, s2
	s_max_i32 s27, s6, 0
	s_sub_i32 s6, 0, s1
	s_max_i32 s28, s6, 0
	s_sub_i32 s6, 0, s0
	s_waitcnt lgkmcnt(0)
	s_max_i32 s13, s0, 0
	s_add_i32 s0, s0, s8
	s_add_i32 s3, s3, s7
	s_max_i32 s29, s6, 0
	s_max_i32 s9, s2, 0
	s_load_dwordx2 s[6:7], s[4:5], 0x0
	s_add_i32 s0, s0, -1
	s_sub_i32 s9, s27, s9
	v_min_i32_e32 v2, s0, v2
	s_sub_i32 s0, s29, s13
	s_ashr_i32 s27, s26, 31
	v_add3_u32 v3, v3, v7, v6
	v_add_u32_e32 v6, s0, v2
	s_mul_i32 s0, s14, s27
	s_mul_hi_u32 s8, s14, s26
	s_max_i32 s11, s1, 0
	s_add_i32 s12, s2, s12
	s_add_i32 s10, s1, s10
	s_add_i32 s0, s8, s0
	s_mul_i32 s8, s15, s26
	s_add_i32 s12, s12, -1
	s_add_i32 s10, s10, -1
	s_sub_i32 s11, s28, s11
	s_add_i32 s0, s0, s8
	s_mul_i32 s8, s14, s26
	s_waitcnt lgkmcnt(0)
	s_add_u32 s6, s6, s8
	s_addc_u32 s0, s7, s0
	s_ashr_i32 s28, s3, 31
	s_mul_i32 s7, s16, s28
	s_mul_hi_u32 s8, s16, s3
	s_add_i32 s7, s8, s7
	s_mul_i32 s8, s17, s3
	s_add_i32 s7, s7, s8
	s_mul_i32 s8, s16, s3
	s_add_u32 s6, s6, s8
	v_ashrrev_i32_e32 v2, 31, v6
	v_subb_co_u32_e32 v1, vcc, v1, v3, vcc
	s_addc_u32 s7, s0, s7
	v_mul_lo_u32 v7, s18, v2
	v_mov_b32_e32 v2, s6
	v_mov_b32_e32 v3, s7
	v_mad_u64_u32 v[2:3], s[6:7], s18, v6, v[2:3]
	v_mul_lo_u32 v6, s19, v6
	v_max_i32_e32 v8, s1, v4
	v_min_i32_e32 v8, s10, v8
	v_add_u32_e32 v8, s11, v8
	v_add3_u32 v3, v6, v3, v7
	v_ashrrev_i32_e32 v6, 31, v8
	v_mad_u64_u32 v[2:3], s[0:1], s20, v8, v[2:3]
	v_mul_lo_u32 v6, s20, v6
	v_mul_lo_u32 v7, s21, v8
	v_max_i32_e32 v8, s2, v0
	v_min_i32_e32 v8, s12, v8
	v_add_u32_e32 v8, s9, v8
	v_add3_u32 v3, v7, v3, v6
	v_ashrrev_i32_e32 v6, 31, v8
	v_mad_u64_u32 v[2:3], s[0:1], s22, v8, v[2:3]
	v_mul_lo_u32 v6, s22, v6
	v_mul_lo_u32 v7, s23, v8
	v_mul_lo_u32 v1, s24, v1
	v_add3_u32 v3, v7, v3, v6
	global_load_ubyte v6, v[2:3], off
	s_load_dwordx8 s[8:15], s[4:5], 0x88
	s_load_dwordx2 s[0:1], s[4:5], 0x58
	v_ashrrev_i32_e32 v7, 31, v5
	s_waitcnt lgkmcnt(0)
	s_mul_i32 s2, s8, s27
	s_mul_hi_u32 s4, s8, s26
	s_add_i32 s2, s4, s2
	s_mul_i32 s4, s9, s26
	s_add_i32 s2, s2, s4
	s_mul_i32 s4, s8, s26
	s_add_u32 s0, s0, s4
	s_addc_u32 s1, s1, s2
	s_mul_i32 s2, s10, s28
	s_mul_hi_u32 s4, s10, s3
	s_add_i32 s2, s4, s2
	s_mul_i32 s4, s11, s3
	s_add_i32 s2, s2, s4
	s_mul_i32 s3, s10, s3
	s_add_u32 s0, s0, s3
	s_addc_u32 s1, s1, s2
	v_mov_b32_e32 v3, s1
	v_mov_b32_e32 v2, s0
	v_mad_u64_u32 v[2:3], s[0:1], s12, v5, v[2:3]
	v_mul_lo_u32 v5, s13, v5
	v_mul_lo_u32 v7, s12, v7
	v_add3_u32 v3, v5, v3, v7
	v_ashrrev_i32_e32 v5, 31, v4
	v_mad_u64_u32 v[2:3], s[0:1], s14, v4, v[2:3]
	v_mul_lo_u32 v4, s15, v4
	v_mul_lo_u32 v5, s14, v5
	v_add3_u32 v3, v4, v3, v5
	v_mad_u64_u32 v[2:3], s[0:1], s24, v0, v[2:3]
	v_mul_lo_u32 v0, s25, v0
	v_add3_u32 v3, v0, v3, v1
	s_waitcnt vmcnt(0)
	global_store_byte v[2:3], v6, off
.LBB40_14:
	s_endpgm
	.section	.rodata,"a",@progbits
	.p2align	6, 0x0
	.amdhsa_kernel _ZN2at6native12_GLOBAL__N_132replication_pad_forward_kernel3dIhEEvN5torch10headeronly6detail27GenericPackedTensorAccessorINS5_14TensorAccessorIN3c108ArrayRefIlEEKT_Lm4ENS4_16DefaultPtrTraitsElEENS_6detail16IndexBoundsCheckILm5ElEESC_Lm5ESD_lEENS6_INS7_ISA_SB_Lm4ESD_lEESH_SB_Lm5ESD_lEEiiiii
		.amdhsa_group_segment_fixed_size 0
		.amdhsa_private_segment_fixed_size 0
		.amdhsa_kernarg_size 456
		.amdhsa_user_sgpr_count 6
		.amdhsa_user_sgpr_private_segment_buffer 1
		.amdhsa_user_sgpr_dispatch_ptr 0
		.amdhsa_user_sgpr_queue_ptr 0
		.amdhsa_user_sgpr_kernarg_segment_ptr 1
		.amdhsa_user_sgpr_dispatch_id 0
		.amdhsa_user_sgpr_flat_scratch_init 0
		.amdhsa_user_sgpr_private_segment_size 0
		.amdhsa_uses_dynamic_stack 0
		.amdhsa_system_sgpr_private_segment_wavefront_offset 0
		.amdhsa_system_sgpr_workgroup_id_x 1
		.amdhsa_system_sgpr_workgroup_id_y 1
		.amdhsa_system_sgpr_workgroup_id_z 1
		.amdhsa_system_sgpr_workgroup_info 0
		.amdhsa_system_vgpr_workitem_id 0
		.amdhsa_next_free_vgpr 14
		.amdhsa_next_free_sgpr 30
		.amdhsa_reserve_vcc 1
		.amdhsa_reserve_flat_scratch 0
		.amdhsa_float_round_mode_32 0
		.amdhsa_float_round_mode_16_64 0
		.amdhsa_float_denorm_mode_32 3
		.amdhsa_float_denorm_mode_16_64 3
		.amdhsa_dx10_clamp 1
		.amdhsa_ieee_mode 1
		.amdhsa_fp16_overflow 0
		.amdhsa_exception_fp_ieee_invalid_op 0
		.amdhsa_exception_fp_denorm_src 0
		.amdhsa_exception_fp_ieee_div_zero 0
		.amdhsa_exception_fp_ieee_overflow 0
		.amdhsa_exception_fp_ieee_underflow 0
		.amdhsa_exception_fp_ieee_inexact 0
		.amdhsa_exception_int_div_zero 0
	.end_amdhsa_kernel
	.section	.text._ZN2at6native12_GLOBAL__N_132replication_pad_forward_kernel3dIhEEvN5torch10headeronly6detail27GenericPackedTensorAccessorINS5_14TensorAccessorIN3c108ArrayRefIlEEKT_Lm4ENS4_16DefaultPtrTraitsElEENS_6detail16IndexBoundsCheckILm5ElEESC_Lm5ESD_lEENS6_INS7_ISA_SB_Lm4ESD_lEESH_SB_Lm5ESD_lEEiiiii,"axG",@progbits,_ZN2at6native12_GLOBAL__N_132replication_pad_forward_kernel3dIhEEvN5torch10headeronly6detail27GenericPackedTensorAccessorINS5_14TensorAccessorIN3c108ArrayRefIlEEKT_Lm4ENS4_16DefaultPtrTraitsElEENS_6detail16IndexBoundsCheckILm5ElEESC_Lm5ESD_lEENS6_INS7_ISA_SB_Lm4ESD_lEESH_SB_Lm5ESD_lEEiiiii,comdat
.Lfunc_end40:
	.size	_ZN2at6native12_GLOBAL__N_132replication_pad_forward_kernel3dIhEEvN5torch10headeronly6detail27GenericPackedTensorAccessorINS5_14TensorAccessorIN3c108ArrayRefIlEEKT_Lm4ENS4_16DefaultPtrTraitsElEENS_6detail16IndexBoundsCheckILm5ElEESC_Lm5ESD_lEENS6_INS7_ISA_SB_Lm4ESD_lEESH_SB_Lm5ESD_lEEiiiii, .Lfunc_end40-_ZN2at6native12_GLOBAL__N_132replication_pad_forward_kernel3dIhEEvN5torch10headeronly6detail27GenericPackedTensorAccessorINS5_14TensorAccessorIN3c108ArrayRefIlEEKT_Lm4ENS4_16DefaultPtrTraitsElEENS_6detail16IndexBoundsCheckILm5ElEESC_Lm5ESD_lEENS6_INS7_ISA_SB_Lm4ESD_lEESH_SB_Lm5ESD_lEEiiiii
                                        ; -- End function
	.set _ZN2at6native12_GLOBAL__N_132replication_pad_forward_kernel3dIhEEvN5torch10headeronly6detail27GenericPackedTensorAccessorINS5_14TensorAccessorIN3c108ArrayRefIlEEKT_Lm4ENS4_16DefaultPtrTraitsElEENS_6detail16IndexBoundsCheckILm5ElEESC_Lm5ESD_lEENS6_INS7_ISA_SB_Lm4ESD_lEESH_SB_Lm5ESD_lEEiiiii.num_vgpr, 14
	.set _ZN2at6native12_GLOBAL__N_132replication_pad_forward_kernel3dIhEEvN5torch10headeronly6detail27GenericPackedTensorAccessorINS5_14TensorAccessorIN3c108ArrayRefIlEEKT_Lm4ENS4_16DefaultPtrTraitsElEENS_6detail16IndexBoundsCheckILm5ElEESC_Lm5ESD_lEENS6_INS7_ISA_SB_Lm4ESD_lEESH_SB_Lm5ESD_lEEiiiii.num_agpr, 0
	.set _ZN2at6native12_GLOBAL__N_132replication_pad_forward_kernel3dIhEEvN5torch10headeronly6detail27GenericPackedTensorAccessorINS5_14TensorAccessorIN3c108ArrayRefIlEEKT_Lm4ENS4_16DefaultPtrTraitsElEENS_6detail16IndexBoundsCheckILm5ElEESC_Lm5ESD_lEENS6_INS7_ISA_SB_Lm4ESD_lEESH_SB_Lm5ESD_lEEiiiii.numbered_sgpr, 30
	.set _ZN2at6native12_GLOBAL__N_132replication_pad_forward_kernel3dIhEEvN5torch10headeronly6detail27GenericPackedTensorAccessorINS5_14TensorAccessorIN3c108ArrayRefIlEEKT_Lm4ENS4_16DefaultPtrTraitsElEENS_6detail16IndexBoundsCheckILm5ElEESC_Lm5ESD_lEENS6_INS7_ISA_SB_Lm4ESD_lEESH_SB_Lm5ESD_lEEiiiii.num_named_barrier, 0
	.set _ZN2at6native12_GLOBAL__N_132replication_pad_forward_kernel3dIhEEvN5torch10headeronly6detail27GenericPackedTensorAccessorINS5_14TensorAccessorIN3c108ArrayRefIlEEKT_Lm4ENS4_16DefaultPtrTraitsElEENS_6detail16IndexBoundsCheckILm5ElEESC_Lm5ESD_lEENS6_INS7_ISA_SB_Lm4ESD_lEESH_SB_Lm5ESD_lEEiiiii.private_seg_size, 0
	.set _ZN2at6native12_GLOBAL__N_132replication_pad_forward_kernel3dIhEEvN5torch10headeronly6detail27GenericPackedTensorAccessorINS5_14TensorAccessorIN3c108ArrayRefIlEEKT_Lm4ENS4_16DefaultPtrTraitsElEENS_6detail16IndexBoundsCheckILm5ElEESC_Lm5ESD_lEENS6_INS7_ISA_SB_Lm4ESD_lEESH_SB_Lm5ESD_lEEiiiii.uses_vcc, 1
	.set _ZN2at6native12_GLOBAL__N_132replication_pad_forward_kernel3dIhEEvN5torch10headeronly6detail27GenericPackedTensorAccessorINS5_14TensorAccessorIN3c108ArrayRefIlEEKT_Lm4ENS4_16DefaultPtrTraitsElEENS_6detail16IndexBoundsCheckILm5ElEESC_Lm5ESD_lEENS6_INS7_ISA_SB_Lm4ESD_lEESH_SB_Lm5ESD_lEEiiiii.uses_flat_scratch, 0
	.set _ZN2at6native12_GLOBAL__N_132replication_pad_forward_kernel3dIhEEvN5torch10headeronly6detail27GenericPackedTensorAccessorINS5_14TensorAccessorIN3c108ArrayRefIlEEKT_Lm4ENS4_16DefaultPtrTraitsElEENS_6detail16IndexBoundsCheckILm5ElEESC_Lm5ESD_lEENS6_INS7_ISA_SB_Lm4ESD_lEESH_SB_Lm5ESD_lEEiiiii.has_dyn_sized_stack, 0
	.set _ZN2at6native12_GLOBAL__N_132replication_pad_forward_kernel3dIhEEvN5torch10headeronly6detail27GenericPackedTensorAccessorINS5_14TensorAccessorIN3c108ArrayRefIlEEKT_Lm4ENS4_16DefaultPtrTraitsElEENS_6detail16IndexBoundsCheckILm5ElEESC_Lm5ESD_lEENS6_INS7_ISA_SB_Lm4ESD_lEESH_SB_Lm5ESD_lEEiiiii.has_recursion, 0
	.set _ZN2at6native12_GLOBAL__N_132replication_pad_forward_kernel3dIhEEvN5torch10headeronly6detail27GenericPackedTensorAccessorINS5_14TensorAccessorIN3c108ArrayRefIlEEKT_Lm4ENS4_16DefaultPtrTraitsElEENS_6detail16IndexBoundsCheckILm5ElEESC_Lm5ESD_lEENS6_INS7_ISA_SB_Lm4ESD_lEESH_SB_Lm5ESD_lEEiiiii.has_indirect_call, 0
	.section	.AMDGPU.csdata,"",@progbits
; Kernel info:
; codeLenInByte = 2848
; TotalNumSgprs: 34
; NumVgprs: 14
; ScratchSize: 0
; MemoryBound: 0
; FloatMode: 240
; IeeeMode: 1
; LDSByteSize: 0 bytes/workgroup (compile time only)
; SGPRBlocks: 4
; VGPRBlocks: 3
; NumSGPRsForWavesPerEU: 34
; NumVGPRsForWavesPerEU: 14
; Occupancy: 10
; WaveLimiterHint : 1
; COMPUTE_PGM_RSRC2:SCRATCH_EN: 0
; COMPUTE_PGM_RSRC2:USER_SGPR: 6
; COMPUTE_PGM_RSRC2:TRAP_HANDLER: 0
; COMPUTE_PGM_RSRC2:TGID_X_EN: 1
; COMPUTE_PGM_RSRC2:TGID_Y_EN: 1
; COMPUTE_PGM_RSRC2:TGID_Z_EN: 1
; COMPUTE_PGM_RSRC2:TIDIG_COMP_CNT: 0
	.section	.text._ZN2at6native12_GLOBAL__N_132replication_pad_forward_kernel3dIaEEvN5torch10headeronly6detail27GenericPackedTensorAccessorINS5_14TensorAccessorIN3c108ArrayRefIlEEKT_Lm4ENS4_16DefaultPtrTraitsElEENS_6detail16IndexBoundsCheckILm5ElEESC_Lm5ESD_lEENS6_INS7_ISA_SB_Lm4ESD_lEESH_SB_Lm5ESD_lEEiiiii,"axG",@progbits,_ZN2at6native12_GLOBAL__N_132replication_pad_forward_kernel3dIaEEvN5torch10headeronly6detail27GenericPackedTensorAccessorINS5_14TensorAccessorIN3c108ArrayRefIlEEKT_Lm4ENS4_16DefaultPtrTraitsElEENS_6detail16IndexBoundsCheckILm5ElEESC_Lm5ESD_lEENS6_INS7_ISA_SB_Lm4ESD_lEESH_SB_Lm5ESD_lEEiiiii,comdat
	.globl	_ZN2at6native12_GLOBAL__N_132replication_pad_forward_kernel3dIaEEvN5torch10headeronly6detail27GenericPackedTensorAccessorINS5_14TensorAccessorIN3c108ArrayRefIlEEKT_Lm4ENS4_16DefaultPtrTraitsElEENS_6detail16IndexBoundsCheckILm5ElEESC_Lm5ESD_lEENS6_INS7_ISA_SB_Lm4ESD_lEESH_SB_Lm5ESD_lEEiiiii ; -- Begin function _ZN2at6native12_GLOBAL__N_132replication_pad_forward_kernel3dIaEEvN5torch10headeronly6detail27GenericPackedTensorAccessorINS5_14TensorAccessorIN3c108ArrayRefIlEEKT_Lm4ENS4_16DefaultPtrTraitsElEENS_6detail16IndexBoundsCheckILm5ElEESC_Lm5ESD_lEENS6_INS7_ISA_SB_Lm4ESD_lEESH_SB_Lm5ESD_lEEiiiii
	.p2align	8
	.type	_ZN2at6native12_GLOBAL__N_132replication_pad_forward_kernel3dIaEEvN5torch10headeronly6detail27GenericPackedTensorAccessorINS5_14TensorAccessorIN3c108ArrayRefIlEEKT_Lm4ENS4_16DefaultPtrTraitsElEENS_6detail16IndexBoundsCheckILm5ElEESC_Lm5ESD_lEENS6_INS7_ISA_SB_Lm4ESD_lEESH_SB_Lm5ESD_lEEiiiii,@function
_ZN2at6native12_GLOBAL__N_132replication_pad_forward_kernel3dIaEEvN5torch10headeronly6detail27GenericPackedTensorAccessorINS5_14TensorAccessorIN3c108ArrayRefIlEEKT_Lm4ENS4_16DefaultPtrTraitsElEENS_6detail16IndexBoundsCheckILm5ElEESC_Lm5ESD_lEENS6_INS7_ISA_SB_Lm4ESD_lEESH_SB_Lm5ESD_lEEiiiii: ; @_ZN2at6native12_GLOBAL__N_132replication_pad_forward_kernel3dIaEEvN5torch10headeronly6detail27GenericPackedTensorAccessorINS5_14TensorAccessorIN3c108ArrayRefIlEEKT_Lm4ENS4_16DefaultPtrTraitsElEENS_6detail16IndexBoundsCheckILm5ElEESC_Lm5ESD_lEENS6_INS7_ISA_SB_Lm4ESD_lEESH_SB_Lm5ESD_lEEiiiii
; %bb.0:
	s_load_dword s9, s[4:5], 0xd4
	s_load_dwordx4 s[0:3], s[4:5], 0x70
	s_load_dwordx2 s[10:11], s[4:5], 0x80
	s_waitcnt lgkmcnt(0)
	s_and_b32 s9, s9, 0xffff
	s_mul_i32 s6, s6, s9
	v_add_u32_e32 v0, s6, v0
	s_mul_i32 s6, s10, s3
	s_mul_hi_u32 s9, s10, s2
	s_add_i32 s9, s9, s6
	s_mul_i32 s6, s11, s2
	s_add_i32 s9, s9, s6
	s_mul_i32 s6, s10, s2
	s_mul_i32 s1, s6, s1
	s_mul_hi_u32 s12, s6, s0
	s_add_i32 s1, s12, s1
	s_mul_i32 s12, s9, s0
	v_ashrrev_i32_e32 v1, 31, v0
	s_add_i32 s1, s1, s12
	s_mul_i32 s0, s6, s0
	v_cmp_gt_i64_e32 vcc, s[0:1], v[0:1]
	s_and_saveexec_b64 s[0:1], vcc
	s_cbranch_execz .LBB41_14
; %bb.1:
	v_or_b32_e32 v3, s11, v1
	v_mov_b32_e32 v2, 0
	v_cmp_ne_u64_e32 vcc, 0, v[2:3]
	v_ashrrev_i32_e32 v7, 31, v1
                                        ; implicit-def: $vgpr2_vgpr3
	s_and_saveexec_b64 s[0:1], vcc
	s_xor_b64 s[12:13], exec, s[0:1]
	s_cbranch_execz .LBB41_3
; %bb.2:
	s_ashr_i32 s14, s11, 31
	s_add_u32 s0, s10, s14
	s_mov_b32 s15, s14
	s_addc_u32 s1, s11, s14
	s_xor_b64 s[16:17], s[0:1], s[14:15]
	v_cvt_f32_u32_e32 v2, s16
	v_cvt_f32_u32_e32 v3, s17
	s_sub_u32 s15, 0, s16
	s_subb_u32 s18, 0, s17
	v_madmk_f32 v2, v3, 0x4f800000, v2
	v_rcp_f32_e32 v2, v2
	v_mul_f32_e32 v2, 0x5f7ffffc, v2
	v_mul_f32_e32 v3, 0x2f800000, v2
	v_trunc_f32_e32 v3, v3
	v_madmk_f32 v2, v3, 0xcf800000, v2
	v_cvt_u32_f32_e32 v3, v3
	v_cvt_u32_f32_e32 v2, v2
	v_readfirstlane_b32 s19, v3
	v_readfirstlane_b32 s0, v2
	s_mul_i32 s1, s15, s19
	s_mul_hi_u32 s21, s15, s0
	s_mul_i32 s20, s18, s0
	s_add_i32 s1, s21, s1
	s_add_i32 s1, s1, s20
	s_mul_i32 s22, s15, s0
	s_mul_i32 s21, s0, s1
	s_mul_hi_u32 s23, s0, s22
	s_mul_hi_u32 s20, s0, s1
	s_add_u32 s21, s23, s21
	s_addc_u32 s20, 0, s20
	s_mul_hi_u32 s24, s19, s22
	s_mul_i32 s22, s19, s22
	s_add_u32 s21, s21, s22
	s_mul_hi_u32 s23, s19, s1
	s_addc_u32 s20, s20, s24
	s_addc_u32 s21, s23, 0
	s_mul_i32 s1, s19, s1
	s_add_u32 s1, s20, s1
	s_addc_u32 s20, 0, s21
	s_add_u32 s21, s0, s1
	s_cselect_b64 s[0:1], -1, 0
	s_cmp_lg_u64 s[0:1], 0
	s_addc_u32 s19, s19, s20
	s_mul_i32 s0, s15, s19
	s_mul_hi_u32 s1, s15, s21
	s_add_i32 s0, s1, s0
	s_mul_i32 s18, s18, s21
	s_add_i32 s0, s0, s18
	s_mul_i32 s15, s15, s21
	s_mul_hi_u32 s18, s19, s15
	s_mul_i32 s20, s19, s15
	s_mul_i32 s23, s21, s0
	s_mul_hi_u32 s15, s21, s15
	s_mul_hi_u32 s22, s21, s0
	s_add_u32 s15, s15, s23
	s_addc_u32 s22, 0, s22
	s_add_u32 s15, s15, s20
	s_mul_hi_u32 s1, s19, s0
	s_addc_u32 s15, s22, s18
	s_addc_u32 s1, s1, 0
	s_mul_i32 s0, s19, s0
	s_add_u32 s0, s15, s0
	s_addc_u32 s15, 0, s1
	s_add_u32 s18, s21, s0
	s_cselect_b64 s[0:1], -1, 0
	s_cmp_lg_u64 s[0:1], 0
	v_add_co_u32_e32 v2, vcc, v0, v7
	s_addc_u32 s15, s19, s15
	v_xor_b32_e32 v6, v2, v7
	v_mad_u64_u32 v[2:3], s[0:1], v6, s15, 0
	v_mul_hi_u32 v5, v6, s18
	v_addc_co_u32_e32 v4, vcc, v1, v7, vcc
	v_xor_b32_e32 v8, v4, v7
	v_add_co_u32_e32 v9, vcc, v5, v2
	v_addc_co_u32_e32 v10, vcc, 0, v3, vcc
	v_mad_u64_u32 v[2:3], s[0:1], v8, s18, 0
	v_mad_u64_u32 v[4:5], s[0:1], v8, s15, 0
	v_add_co_u32_e32 v2, vcc, v9, v2
	v_addc_co_u32_e32 v2, vcc, v10, v3, vcc
	v_addc_co_u32_e32 v3, vcc, 0, v5, vcc
	v_add_co_u32_e32 v4, vcc, v2, v4
	v_addc_co_u32_e32 v5, vcc, 0, v3, vcc
	v_mul_lo_u32 v9, s17, v4
	v_mul_lo_u32 v10, s16, v5
	v_mad_u64_u32 v[2:3], s[0:1], s16, v4, 0
	v_add3_u32 v3, v3, v10, v9
	v_sub_u32_e32 v9, v8, v3
	v_mov_b32_e32 v10, s17
	v_sub_co_u32_e32 v2, vcc, v6, v2
	v_subb_co_u32_e64 v6, s[0:1], v9, v10, vcc
	v_subrev_co_u32_e64 v9, s[0:1], s16, v2
	v_subbrev_co_u32_e64 v6, s[0:1], 0, v6, s[0:1]
	v_cmp_le_u32_e64 s[0:1], s17, v6
	v_cndmask_b32_e64 v10, 0, -1, s[0:1]
	v_cmp_le_u32_e64 s[0:1], s16, v9
	v_cndmask_b32_e64 v9, 0, -1, s[0:1]
	v_cmp_eq_u32_e64 s[0:1], s17, v6
	v_cndmask_b32_e64 v6, v10, v9, s[0:1]
	v_add_co_u32_e64 v9, s[0:1], 2, v4
	v_subb_co_u32_e32 v3, vcc, v8, v3, vcc
	v_addc_co_u32_e64 v10, s[0:1], 0, v5, s[0:1]
	v_cmp_le_u32_e32 vcc, s17, v3
	v_add_co_u32_e64 v11, s[0:1], 1, v4
	v_cndmask_b32_e64 v8, 0, -1, vcc
	v_cmp_le_u32_e32 vcc, s16, v2
	v_addc_co_u32_e64 v12, s[0:1], 0, v5, s[0:1]
	v_cndmask_b32_e64 v2, 0, -1, vcc
	v_cmp_eq_u32_e32 vcc, s17, v3
	v_cmp_ne_u32_e64 s[0:1], 0, v6
	v_cndmask_b32_e32 v2, v8, v2, vcc
	v_cndmask_b32_e64 v6, v12, v10, s[0:1]
	v_cmp_ne_u32_e32 vcc, 0, v2
	v_cndmask_b32_e64 v3, v11, v9, s[0:1]
	v_cndmask_b32_e32 v2, v5, v6, vcc
	v_cndmask_b32_e32 v3, v4, v3, vcc
	v_xor_b32_e32 v4, s14, v7
	v_xor_b32_e32 v5, v2, v4
	v_xor_b32_e32 v2, v3, v4
	v_sub_co_u32_e32 v2, vcc, v2, v4
	v_subb_co_u32_e32 v3, vcc, v5, v4, vcc
.LBB41_3:
	s_andn2_saveexec_b64 s[0:1], s[12:13]
	s_cbranch_execz .LBB41_5
; %bb.4:
	v_cvt_f32_u32_e32 v2, s10
	s_sub_i32 s12, 0, s10
	v_rcp_iflag_f32_e32 v2, v2
	v_mul_f32_e32 v2, 0x4f7ffffe, v2
	v_cvt_u32_f32_e32 v2, v2
	v_mul_lo_u32 v3, s12, v2
	v_mul_hi_u32 v3, v2, v3
	v_add_u32_e32 v2, v2, v3
	v_mul_hi_u32 v2, v0, v2
	v_mul_lo_u32 v3, v2, s10
	v_add_u32_e32 v4, 1, v2
	v_sub_u32_e32 v3, v0, v3
	v_subrev_u32_e32 v5, s10, v3
	v_cmp_le_u32_e32 vcc, s10, v3
	v_cndmask_b32_e32 v3, v3, v5, vcc
	v_cndmask_b32_e32 v2, v2, v4, vcc
	v_add_u32_e32 v4, 1, v2
	v_cmp_le_u32_e32 vcc, s10, v3
	v_cndmask_b32_e32 v2, v2, v4, vcc
	v_mov_b32_e32 v3, 0
.LBB41_5:
	s_or_b64 exec, exec, s[0:1]
	v_or_b32_e32 v5, s3, v3
	v_mov_b32_e32 v4, 0
	v_cmp_ne_u64_e32 vcc, 0, v[4:5]
                                        ; implicit-def: $vgpr4_vgpr5
	s_and_saveexec_b64 s[0:1], vcc
	s_xor_b64 s[12:13], exec, s[0:1]
	s_cbranch_execz .LBB41_7
; %bb.6:
	s_ashr_i32 s0, s3, 31
	s_add_u32 s14, s2, s0
	s_mov_b32 s1, s0
	s_addc_u32 s15, s3, s0
	s_xor_b64 s[14:15], s[14:15], s[0:1]
	v_cvt_f32_u32_e32 v4, s14
	v_cvt_f32_u32_e32 v5, s15
	s_sub_u32 s3, 0, s14
	s_subb_u32 s16, 0, s15
	v_ashrrev_i32_e32 v6, 31, v3
	v_madmk_f32 v4, v5, 0x4f800000, v4
	v_rcp_f32_e32 v4, v4
	v_mul_f32_e32 v4, 0x5f7ffffc, v4
	v_mul_f32_e32 v5, 0x2f800000, v4
	v_trunc_f32_e32 v5, v5
	v_madmk_f32 v4, v5, 0xcf800000, v4
	v_cvt_u32_f32_e32 v5, v5
	v_cvt_u32_f32_e32 v4, v4
	v_readfirstlane_b32 s17, v5
	v_readfirstlane_b32 s0, v4
	s_mul_i32 s1, s3, s17
	s_mul_hi_u32 s19, s3, s0
	s_mul_i32 s18, s16, s0
	s_add_i32 s1, s19, s1
	s_add_i32 s1, s1, s18
	s_mul_i32 s20, s3, s0
	s_mul_i32 s19, s0, s1
	s_mul_hi_u32 s21, s0, s20
	s_mul_hi_u32 s18, s0, s1
	s_add_u32 s19, s21, s19
	s_addc_u32 s18, 0, s18
	s_mul_hi_u32 s22, s17, s20
	s_mul_i32 s20, s17, s20
	s_add_u32 s19, s19, s20
	s_mul_hi_u32 s21, s17, s1
	s_addc_u32 s18, s18, s22
	s_addc_u32 s19, s21, 0
	s_mul_i32 s1, s17, s1
	s_add_u32 s1, s18, s1
	s_addc_u32 s18, 0, s19
	s_add_u32 s19, s0, s1
	s_cselect_b64 s[0:1], -1, 0
	s_cmp_lg_u64 s[0:1], 0
	s_addc_u32 s17, s17, s18
	s_mul_i32 s0, s3, s17
	s_mul_hi_u32 s1, s3, s19
	s_add_i32 s0, s1, s0
	s_mul_i32 s16, s16, s19
	s_add_i32 s0, s0, s16
	s_mul_i32 s3, s3, s19
	s_mul_hi_u32 s16, s17, s3
	s_mul_i32 s18, s17, s3
	s_mul_i32 s21, s19, s0
	s_mul_hi_u32 s3, s19, s3
	s_mul_hi_u32 s20, s19, s0
	s_add_u32 s3, s3, s21
	s_addc_u32 s20, 0, s20
	s_add_u32 s3, s3, s18
	s_mul_hi_u32 s1, s17, s0
	s_addc_u32 s3, s20, s16
	s_addc_u32 s1, s1, 0
	s_mul_i32 s0, s17, s0
	s_add_u32 s0, s3, s0
	s_addc_u32 s3, 0, s1
	s_add_u32 s16, s19, s0
	s_cselect_b64 s[0:1], -1, 0
	s_cmp_lg_u64 s[0:1], 0
	v_add_co_u32_e32 v4, vcc, v2, v6
	s_addc_u32 s3, s17, s3
	v_xor_b32_e32 v10, v4, v6
	v_mad_u64_u32 v[4:5], s[0:1], v10, s3, 0
	v_mul_hi_u32 v9, v10, s16
	v_addc_co_u32_e32 v8, vcc, v3, v6, vcc
	v_xor_b32_e32 v11, v8, v6
	v_add_co_u32_e32 v12, vcc, v9, v4
	v_addc_co_u32_e32 v13, vcc, 0, v5, vcc
	v_mad_u64_u32 v[4:5], s[0:1], v11, s16, 0
	v_mad_u64_u32 v[8:9], s[0:1], v11, s3, 0
	v_add_co_u32_e32 v4, vcc, v12, v4
	v_addc_co_u32_e32 v4, vcc, v13, v5, vcc
	v_addc_co_u32_e32 v5, vcc, 0, v9, vcc
	v_add_co_u32_e32 v4, vcc, v4, v8
	v_addc_co_u32_e32 v5, vcc, 0, v5, vcc
	v_mul_lo_u32 v8, s15, v4
	v_mul_lo_u32 v9, s14, v5
	v_mad_u64_u32 v[4:5], s[0:1], s14, v4, 0
	v_add3_u32 v5, v5, v9, v8
	v_sub_u32_e32 v8, v11, v5
	v_mov_b32_e32 v9, s15
	v_sub_co_u32_e32 v4, vcc, v10, v4
	v_subb_co_u32_e64 v8, s[0:1], v8, v9, vcc
	v_subrev_co_u32_e64 v9, s[0:1], s14, v4
	v_subbrev_co_u32_e64 v8, s[0:1], 0, v8, s[0:1]
	v_cmp_le_u32_e64 s[0:1], s15, v8
	v_subb_co_u32_e32 v5, vcc, v11, v5, vcc
	v_cndmask_b32_e64 v10, 0, -1, s[0:1]
	v_cmp_le_u32_e64 s[0:1], s14, v9
	v_cmp_le_u32_e32 vcc, s15, v5
	v_cndmask_b32_e64 v12, 0, -1, s[0:1]
	v_cmp_eq_u32_e64 s[0:1], s15, v8
	v_cndmask_b32_e64 v11, 0, -1, vcc
	v_cmp_le_u32_e32 vcc, s14, v4
	v_cndmask_b32_e64 v8, v10, v12, s[0:1]
	v_cndmask_b32_e64 v12, 0, -1, vcc
	v_cmp_eq_u32_e32 vcc, s15, v5
	v_subrev_co_u32_e64 v10, s[0:1], s14, v9
	v_cndmask_b32_e32 v5, v11, v12, vcc
	v_cmp_ne_u32_e32 vcc, 0, v8
	v_cndmask_b32_e32 v8, v9, v10, vcc
	v_cmp_ne_u32_e32 vcc, 0, v5
	v_cndmask_b32_e32 v4, v4, v8, vcc
	v_xor_b32_e32 v4, v4, v6
	v_sub_co_u32_e32 v4, vcc, v4, v6
.LBB41_7:
	s_andn2_saveexec_b64 s[0:1], s[12:13]
	s_cbranch_execz .LBB41_9
; %bb.8:
	v_cvt_f32_u32_e32 v4, s2
	s_sub_i32 s3, 0, s2
	v_rcp_iflag_f32_e32 v4, v4
	v_mul_f32_e32 v4, 0x4f7ffffe, v4
	v_cvt_u32_f32_e32 v4, v4
	v_mul_lo_u32 v5, s3, v4
	v_mul_hi_u32 v5, v4, v5
	v_add_u32_e32 v4, v4, v5
	v_mul_hi_u32 v4, v2, v4
	v_mul_lo_u32 v4, v4, s2
	v_sub_u32_e32 v4, v2, v4
	v_subrev_u32_e32 v5, s2, v4
	v_cmp_le_u32_e32 vcc, s2, v4
	v_cndmask_b32_e32 v4, v4, v5, vcc
	v_subrev_u32_e32 v5, s2, v4
	v_cmp_le_u32_e32 vcc, s2, v4
	v_cndmask_b32_e32 v4, v4, v5, vcc
.LBB41_9:
	s_or_b64 exec, exec, s[0:1]
	v_or_b32_e32 v6, s9, v1
	v_mov_b32_e32 v5, 0
	v_cmp_ne_u64_e32 vcc, 0, v[5:6]
                                        ; implicit-def: $vgpr5_vgpr6
	s_and_saveexec_b64 s[0:1], vcc
	s_xor_b64 s[2:3], exec, s[0:1]
	s_cbranch_execz .LBB41_11
; %bb.10:
	s_ashr_i32 s12, s9, 31
	s_add_u32 s0, s6, s12
	s_mov_b32 s13, s12
	s_addc_u32 s1, s9, s12
	s_xor_b64 s[14:15], s[0:1], s[12:13]
	v_cvt_f32_u32_e32 v5, s14
	v_cvt_f32_u32_e32 v6, s15
	s_sub_u32 s9, 0, s14
	s_subb_u32 s13, 0, s15
	v_madmk_f32 v5, v6, 0x4f800000, v5
	v_rcp_f32_e32 v5, v5
	v_mul_f32_e32 v5, 0x5f7ffffc, v5
	v_mul_f32_e32 v6, 0x2f800000, v5
	v_trunc_f32_e32 v6, v6
	v_madmk_f32 v5, v6, 0xcf800000, v5
	v_cvt_u32_f32_e32 v6, v6
	v_cvt_u32_f32_e32 v5, v5
	v_readfirstlane_b32 s16, v6
	v_readfirstlane_b32 s0, v5
	s_mul_i32 s1, s9, s16
	s_mul_hi_u32 s18, s9, s0
	s_mul_i32 s17, s13, s0
	s_add_i32 s1, s18, s1
	s_add_i32 s1, s1, s17
	s_mul_i32 s19, s9, s0
	s_mul_i32 s18, s0, s1
	s_mul_hi_u32 s20, s0, s19
	s_mul_hi_u32 s17, s0, s1
	s_add_u32 s18, s20, s18
	s_addc_u32 s17, 0, s17
	s_mul_hi_u32 s21, s16, s19
	s_mul_i32 s19, s16, s19
	s_add_u32 s18, s18, s19
	s_mul_hi_u32 s20, s16, s1
	s_addc_u32 s17, s17, s21
	s_addc_u32 s18, s20, 0
	s_mul_i32 s1, s16, s1
	s_add_u32 s1, s17, s1
	s_addc_u32 s17, 0, s18
	s_add_u32 s18, s0, s1
	s_cselect_b64 s[0:1], -1, 0
	s_cmp_lg_u64 s[0:1], 0
	s_addc_u32 s16, s16, s17
	s_mul_i32 s0, s9, s16
	s_mul_hi_u32 s1, s9, s18
	s_add_i32 s0, s1, s0
	s_mul_i32 s13, s13, s18
	s_add_i32 s0, s0, s13
	s_mul_i32 s9, s9, s18
	s_mul_hi_u32 s13, s16, s9
	s_mul_i32 s17, s16, s9
	s_mul_i32 s20, s18, s0
	s_mul_hi_u32 s9, s18, s9
	s_mul_hi_u32 s19, s18, s0
	s_add_u32 s9, s9, s20
	s_addc_u32 s19, 0, s19
	s_add_u32 s9, s9, s17
	s_mul_hi_u32 s1, s16, s0
	s_addc_u32 s9, s19, s13
	s_addc_u32 s1, s1, 0
	s_mul_i32 s0, s16, s0
	s_add_u32 s0, s9, s0
	s_addc_u32 s9, 0, s1
	s_add_u32 s13, s18, s0
	s_cselect_b64 s[0:1], -1, 0
	s_cmp_lg_u64 s[0:1], 0
	v_add_co_u32_e32 v5, vcc, v0, v7
	s_addc_u32 s9, s16, s9
	v_xor_b32_e32 v10, v5, v7
	v_mad_u64_u32 v[5:6], s[0:1], v10, s9, 0
	v_mul_hi_u32 v9, v10, s13
	v_addc_co_u32_e32 v8, vcc, v1, v7, vcc
	v_xor_b32_e32 v11, v8, v7
	v_add_co_u32_e32 v12, vcc, v9, v5
	v_addc_co_u32_e32 v13, vcc, 0, v6, vcc
	v_mad_u64_u32 v[5:6], s[0:1], v11, s13, 0
	v_mad_u64_u32 v[8:9], s[0:1], v11, s9, 0
	v_add_co_u32_e32 v5, vcc, v12, v5
	v_addc_co_u32_e32 v5, vcc, v13, v6, vcc
	v_addc_co_u32_e32 v6, vcc, 0, v9, vcc
	v_add_co_u32_e32 v8, vcc, v5, v8
	v_addc_co_u32_e32 v5, vcc, 0, v6, vcc
	v_mul_lo_u32 v9, s15, v8
	v_mul_lo_u32 v12, s14, v5
	v_mad_u64_u32 v[5:6], s[0:1], s14, v8, 0
	v_add3_u32 v6, v6, v12, v9
	v_sub_u32_e32 v9, v11, v6
	v_mov_b32_e32 v12, s15
	v_sub_co_u32_e32 v5, vcc, v10, v5
	v_subb_co_u32_e64 v9, s[0:1], v9, v12, vcc
	v_subrev_co_u32_e64 v10, s[0:1], s14, v5
	v_subbrev_co_u32_e64 v9, s[0:1], 0, v9, s[0:1]
	v_cmp_le_u32_e64 s[0:1], s15, v9
	v_subb_co_u32_e32 v6, vcc, v11, v6, vcc
	v_cndmask_b32_e64 v12, 0, -1, s[0:1]
	v_cmp_le_u32_e64 s[0:1], s14, v10
	v_cmp_le_u32_e32 vcc, s15, v6
	v_cndmask_b32_e64 v10, 0, -1, s[0:1]
	v_cmp_eq_u32_e64 s[0:1], s15, v9
	v_cndmask_b32_e64 v11, 0, -1, vcc
	v_cmp_le_u32_e32 vcc, s14, v5
	v_cndmask_b32_e64 v9, v12, v10, s[0:1]
	v_cndmask_b32_e64 v5, 0, -1, vcc
	v_cmp_eq_u32_e32 vcc, s15, v6
	v_add_co_u32_e64 v10, s[0:1], 2, v8
	v_add_co_u32_e64 v12, s[0:1], 1, v8
	v_cndmask_b32_e32 v5, v11, v5, vcc
	v_cmp_ne_u32_e32 vcc, 0, v9
	v_cndmask_b32_e32 v6, v12, v10, vcc
	v_cmp_ne_u32_e32 vcc, 0, v5
	v_cndmask_b32_e32 v5, v8, v6, vcc
	v_xor_b32_e32 v6, s12, v7
	v_xor_b32_e32 v5, v5, v6
	v_sub_co_u32_e32 v5, vcc, v5, v6
.LBB41_11:
	s_andn2_saveexec_b64 s[0:1], s[2:3]
	s_cbranch_execz .LBB41_13
; %bb.12:
	v_cvt_f32_u32_e32 v5, s6
	s_sub_i32 s2, 0, s6
	v_rcp_iflag_f32_e32 v5, v5
	v_mul_f32_e32 v5, 0x4f7ffffe, v5
	v_cvt_u32_f32_e32 v5, v5
	v_mul_lo_u32 v6, s2, v5
	v_mul_hi_u32 v6, v5, v6
	v_add_u32_e32 v5, v5, v6
	v_mul_hi_u32 v5, v0, v5
	v_mul_lo_u32 v6, v5, s6
	v_add_u32_e32 v7, 1, v5
	v_sub_u32_e32 v6, v0, v6
	v_subrev_u32_e32 v8, s6, v6
	v_cmp_le_u32_e32 vcc, s6, v6
	v_cndmask_b32_e32 v6, v6, v8, vcc
	v_cndmask_b32_e32 v5, v5, v7, vcc
	v_add_u32_e32 v7, 1, v5
	v_cmp_le_u32_e32 vcc, s6, v6
	v_cndmask_b32_e32 v5, v5, v7, vcc
.LBB41_13:
	s_or_b64 exec, exec, s[0:1]
	v_mul_lo_u32 v6, v3, s10
	v_mul_lo_u32 v7, v2, s11
	v_mad_u64_u32 v[2:3], s[0:1], v2, s10, 0
	s_load_dwordx4 s[0:3], s[4:5], 0xb0
	s_load_dword s6, s[4:5], 0xc0
	s_load_dwordx2 s[24:25], s[4:5], 0xa8
	v_sub_co_u32_e32 v0, vcc, v0, v2
	s_waitcnt lgkmcnt(0)
	v_max_i32_e32 v2, s0, v5
	s_add_i32 s26, s6, s8
	s_load_dwordx16 s[8:23], s[4:5], 0x18
	s_sub_i32 s6, 0, s2
	s_max_i32 s27, s6, 0
	s_sub_i32 s6, 0, s1
	s_max_i32 s28, s6, 0
	s_sub_i32 s6, 0, s0
	s_waitcnt lgkmcnt(0)
	s_max_i32 s13, s0, 0
	s_add_i32 s0, s0, s8
	s_add_i32 s3, s3, s7
	s_max_i32 s29, s6, 0
	s_max_i32 s9, s2, 0
	s_load_dwordx2 s[6:7], s[4:5], 0x0
	s_add_i32 s0, s0, -1
	s_sub_i32 s9, s27, s9
	v_min_i32_e32 v2, s0, v2
	s_sub_i32 s0, s29, s13
	s_ashr_i32 s27, s26, 31
	v_add3_u32 v3, v3, v7, v6
	v_add_u32_e32 v6, s0, v2
	s_mul_i32 s0, s14, s27
	s_mul_hi_u32 s8, s14, s26
	s_max_i32 s11, s1, 0
	s_add_i32 s12, s2, s12
	s_add_i32 s10, s1, s10
	;; [unrolled: 1-line block ×3, first 2 shown]
	s_mul_i32 s8, s15, s26
	s_add_i32 s12, s12, -1
	s_add_i32 s10, s10, -1
	s_sub_i32 s11, s28, s11
	s_add_i32 s0, s0, s8
	s_mul_i32 s8, s14, s26
	s_waitcnt lgkmcnt(0)
	s_add_u32 s6, s6, s8
	s_addc_u32 s0, s7, s0
	s_ashr_i32 s28, s3, 31
	s_mul_i32 s7, s16, s28
	s_mul_hi_u32 s8, s16, s3
	s_add_i32 s7, s8, s7
	s_mul_i32 s8, s17, s3
	s_add_i32 s7, s7, s8
	s_mul_i32 s8, s16, s3
	s_add_u32 s6, s6, s8
	v_ashrrev_i32_e32 v2, 31, v6
	v_subb_co_u32_e32 v1, vcc, v1, v3, vcc
	s_addc_u32 s7, s0, s7
	v_mul_lo_u32 v7, s18, v2
	v_mov_b32_e32 v2, s6
	v_mov_b32_e32 v3, s7
	v_mad_u64_u32 v[2:3], s[6:7], s18, v6, v[2:3]
	v_mul_lo_u32 v6, s19, v6
	v_max_i32_e32 v8, s1, v4
	v_min_i32_e32 v8, s10, v8
	v_add_u32_e32 v8, s11, v8
	v_add3_u32 v3, v6, v3, v7
	v_ashrrev_i32_e32 v6, 31, v8
	v_mad_u64_u32 v[2:3], s[0:1], s20, v8, v[2:3]
	v_mul_lo_u32 v6, s20, v6
	v_mul_lo_u32 v7, s21, v8
	v_max_i32_e32 v8, s2, v0
	v_min_i32_e32 v8, s12, v8
	v_add_u32_e32 v8, s9, v8
	v_add3_u32 v3, v7, v3, v6
	v_ashrrev_i32_e32 v6, 31, v8
	v_mad_u64_u32 v[2:3], s[0:1], s22, v8, v[2:3]
	v_mul_lo_u32 v6, s22, v6
	v_mul_lo_u32 v7, s23, v8
	;; [unrolled: 1-line block ×3, first 2 shown]
	v_add3_u32 v3, v7, v3, v6
	global_load_ubyte v6, v[2:3], off
	s_load_dwordx8 s[8:15], s[4:5], 0x88
	s_load_dwordx2 s[0:1], s[4:5], 0x58
	v_ashrrev_i32_e32 v7, 31, v5
	s_waitcnt lgkmcnt(0)
	s_mul_i32 s2, s8, s27
	s_mul_hi_u32 s4, s8, s26
	s_add_i32 s2, s4, s2
	s_mul_i32 s4, s9, s26
	s_add_i32 s2, s2, s4
	s_mul_i32 s4, s8, s26
	s_add_u32 s0, s0, s4
	s_addc_u32 s1, s1, s2
	s_mul_i32 s2, s10, s28
	s_mul_hi_u32 s4, s10, s3
	s_add_i32 s2, s4, s2
	s_mul_i32 s4, s11, s3
	s_add_i32 s2, s2, s4
	s_mul_i32 s3, s10, s3
	s_add_u32 s0, s0, s3
	s_addc_u32 s1, s1, s2
	v_mov_b32_e32 v3, s1
	v_mov_b32_e32 v2, s0
	v_mad_u64_u32 v[2:3], s[0:1], s12, v5, v[2:3]
	v_mul_lo_u32 v5, s13, v5
	v_mul_lo_u32 v7, s12, v7
	v_add3_u32 v3, v5, v3, v7
	v_ashrrev_i32_e32 v5, 31, v4
	v_mad_u64_u32 v[2:3], s[0:1], s14, v4, v[2:3]
	v_mul_lo_u32 v4, s15, v4
	v_mul_lo_u32 v5, s14, v5
	v_add3_u32 v3, v4, v3, v5
	v_mad_u64_u32 v[2:3], s[0:1], s24, v0, v[2:3]
	v_mul_lo_u32 v0, s25, v0
	v_add3_u32 v3, v0, v3, v1
	s_waitcnt vmcnt(0)
	global_store_byte v[2:3], v6, off
.LBB41_14:
	s_endpgm
	.section	.rodata,"a",@progbits
	.p2align	6, 0x0
	.amdhsa_kernel _ZN2at6native12_GLOBAL__N_132replication_pad_forward_kernel3dIaEEvN5torch10headeronly6detail27GenericPackedTensorAccessorINS5_14TensorAccessorIN3c108ArrayRefIlEEKT_Lm4ENS4_16DefaultPtrTraitsElEENS_6detail16IndexBoundsCheckILm5ElEESC_Lm5ESD_lEENS6_INS7_ISA_SB_Lm4ESD_lEESH_SB_Lm5ESD_lEEiiiii
		.amdhsa_group_segment_fixed_size 0
		.amdhsa_private_segment_fixed_size 0
		.amdhsa_kernarg_size 456
		.amdhsa_user_sgpr_count 6
		.amdhsa_user_sgpr_private_segment_buffer 1
		.amdhsa_user_sgpr_dispatch_ptr 0
		.amdhsa_user_sgpr_queue_ptr 0
		.amdhsa_user_sgpr_kernarg_segment_ptr 1
		.amdhsa_user_sgpr_dispatch_id 0
		.amdhsa_user_sgpr_flat_scratch_init 0
		.amdhsa_user_sgpr_private_segment_size 0
		.amdhsa_uses_dynamic_stack 0
		.amdhsa_system_sgpr_private_segment_wavefront_offset 0
		.amdhsa_system_sgpr_workgroup_id_x 1
		.amdhsa_system_sgpr_workgroup_id_y 1
		.amdhsa_system_sgpr_workgroup_id_z 1
		.amdhsa_system_sgpr_workgroup_info 0
		.amdhsa_system_vgpr_workitem_id 0
		.amdhsa_next_free_vgpr 14
		.amdhsa_next_free_sgpr 30
		.amdhsa_reserve_vcc 1
		.amdhsa_reserve_flat_scratch 0
		.amdhsa_float_round_mode_32 0
		.amdhsa_float_round_mode_16_64 0
		.amdhsa_float_denorm_mode_32 3
		.amdhsa_float_denorm_mode_16_64 3
		.amdhsa_dx10_clamp 1
		.amdhsa_ieee_mode 1
		.amdhsa_fp16_overflow 0
		.amdhsa_exception_fp_ieee_invalid_op 0
		.amdhsa_exception_fp_denorm_src 0
		.amdhsa_exception_fp_ieee_div_zero 0
		.amdhsa_exception_fp_ieee_overflow 0
		.amdhsa_exception_fp_ieee_underflow 0
		.amdhsa_exception_fp_ieee_inexact 0
		.amdhsa_exception_int_div_zero 0
	.end_amdhsa_kernel
	.section	.text._ZN2at6native12_GLOBAL__N_132replication_pad_forward_kernel3dIaEEvN5torch10headeronly6detail27GenericPackedTensorAccessorINS5_14TensorAccessorIN3c108ArrayRefIlEEKT_Lm4ENS4_16DefaultPtrTraitsElEENS_6detail16IndexBoundsCheckILm5ElEESC_Lm5ESD_lEENS6_INS7_ISA_SB_Lm4ESD_lEESH_SB_Lm5ESD_lEEiiiii,"axG",@progbits,_ZN2at6native12_GLOBAL__N_132replication_pad_forward_kernel3dIaEEvN5torch10headeronly6detail27GenericPackedTensorAccessorINS5_14TensorAccessorIN3c108ArrayRefIlEEKT_Lm4ENS4_16DefaultPtrTraitsElEENS_6detail16IndexBoundsCheckILm5ElEESC_Lm5ESD_lEENS6_INS7_ISA_SB_Lm4ESD_lEESH_SB_Lm5ESD_lEEiiiii,comdat
.Lfunc_end41:
	.size	_ZN2at6native12_GLOBAL__N_132replication_pad_forward_kernel3dIaEEvN5torch10headeronly6detail27GenericPackedTensorAccessorINS5_14TensorAccessorIN3c108ArrayRefIlEEKT_Lm4ENS4_16DefaultPtrTraitsElEENS_6detail16IndexBoundsCheckILm5ElEESC_Lm5ESD_lEENS6_INS7_ISA_SB_Lm4ESD_lEESH_SB_Lm5ESD_lEEiiiii, .Lfunc_end41-_ZN2at6native12_GLOBAL__N_132replication_pad_forward_kernel3dIaEEvN5torch10headeronly6detail27GenericPackedTensorAccessorINS5_14TensorAccessorIN3c108ArrayRefIlEEKT_Lm4ENS4_16DefaultPtrTraitsElEENS_6detail16IndexBoundsCheckILm5ElEESC_Lm5ESD_lEENS6_INS7_ISA_SB_Lm4ESD_lEESH_SB_Lm5ESD_lEEiiiii
                                        ; -- End function
	.set _ZN2at6native12_GLOBAL__N_132replication_pad_forward_kernel3dIaEEvN5torch10headeronly6detail27GenericPackedTensorAccessorINS5_14TensorAccessorIN3c108ArrayRefIlEEKT_Lm4ENS4_16DefaultPtrTraitsElEENS_6detail16IndexBoundsCheckILm5ElEESC_Lm5ESD_lEENS6_INS7_ISA_SB_Lm4ESD_lEESH_SB_Lm5ESD_lEEiiiii.num_vgpr, 14
	.set _ZN2at6native12_GLOBAL__N_132replication_pad_forward_kernel3dIaEEvN5torch10headeronly6detail27GenericPackedTensorAccessorINS5_14TensorAccessorIN3c108ArrayRefIlEEKT_Lm4ENS4_16DefaultPtrTraitsElEENS_6detail16IndexBoundsCheckILm5ElEESC_Lm5ESD_lEENS6_INS7_ISA_SB_Lm4ESD_lEESH_SB_Lm5ESD_lEEiiiii.num_agpr, 0
	.set _ZN2at6native12_GLOBAL__N_132replication_pad_forward_kernel3dIaEEvN5torch10headeronly6detail27GenericPackedTensorAccessorINS5_14TensorAccessorIN3c108ArrayRefIlEEKT_Lm4ENS4_16DefaultPtrTraitsElEENS_6detail16IndexBoundsCheckILm5ElEESC_Lm5ESD_lEENS6_INS7_ISA_SB_Lm4ESD_lEESH_SB_Lm5ESD_lEEiiiii.numbered_sgpr, 30
	.set _ZN2at6native12_GLOBAL__N_132replication_pad_forward_kernel3dIaEEvN5torch10headeronly6detail27GenericPackedTensorAccessorINS5_14TensorAccessorIN3c108ArrayRefIlEEKT_Lm4ENS4_16DefaultPtrTraitsElEENS_6detail16IndexBoundsCheckILm5ElEESC_Lm5ESD_lEENS6_INS7_ISA_SB_Lm4ESD_lEESH_SB_Lm5ESD_lEEiiiii.num_named_barrier, 0
	.set _ZN2at6native12_GLOBAL__N_132replication_pad_forward_kernel3dIaEEvN5torch10headeronly6detail27GenericPackedTensorAccessorINS5_14TensorAccessorIN3c108ArrayRefIlEEKT_Lm4ENS4_16DefaultPtrTraitsElEENS_6detail16IndexBoundsCheckILm5ElEESC_Lm5ESD_lEENS6_INS7_ISA_SB_Lm4ESD_lEESH_SB_Lm5ESD_lEEiiiii.private_seg_size, 0
	.set _ZN2at6native12_GLOBAL__N_132replication_pad_forward_kernel3dIaEEvN5torch10headeronly6detail27GenericPackedTensorAccessorINS5_14TensorAccessorIN3c108ArrayRefIlEEKT_Lm4ENS4_16DefaultPtrTraitsElEENS_6detail16IndexBoundsCheckILm5ElEESC_Lm5ESD_lEENS6_INS7_ISA_SB_Lm4ESD_lEESH_SB_Lm5ESD_lEEiiiii.uses_vcc, 1
	.set _ZN2at6native12_GLOBAL__N_132replication_pad_forward_kernel3dIaEEvN5torch10headeronly6detail27GenericPackedTensorAccessorINS5_14TensorAccessorIN3c108ArrayRefIlEEKT_Lm4ENS4_16DefaultPtrTraitsElEENS_6detail16IndexBoundsCheckILm5ElEESC_Lm5ESD_lEENS6_INS7_ISA_SB_Lm4ESD_lEESH_SB_Lm5ESD_lEEiiiii.uses_flat_scratch, 0
	.set _ZN2at6native12_GLOBAL__N_132replication_pad_forward_kernel3dIaEEvN5torch10headeronly6detail27GenericPackedTensorAccessorINS5_14TensorAccessorIN3c108ArrayRefIlEEKT_Lm4ENS4_16DefaultPtrTraitsElEENS_6detail16IndexBoundsCheckILm5ElEESC_Lm5ESD_lEENS6_INS7_ISA_SB_Lm4ESD_lEESH_SB_Lm5ESD_lEEiiiii.has_dyn_sized_stack, 0
	.set _ZN2at6native12_GLOBAL__N_132replication_pad_forward_kernel3dIaEEvN5torch10headeronly6detail27GenericPackedTensorAccessorINS5_14TensorAccessorIN3c108ArrayRefIlEEKT_Lm4ENS4_16DefaultPtrTraitsElEENS_6detail16IndexBoundsCheckILm5ElEESC_Lm5ESD_lEENS6_INS7_ISA_SB_Lm4ESD_lEESH_SB_Lm5ESD_lEEiiiii.has_recursion, 0
	.set _ZN2at6native12_GLOBAL__N_132replication_pad_forward_kernel3dIaEEvN5torch10headeronly6detail27GenericPackedTensorAccessorINS5_14TensorAccessorIN3c108ArrayRefIlEEKT_Lm4ENS4_16DefaultPtrTraitsElEENS_6detail16IndexBoundsCheckILm5ElEESC_Lm5ESD_lEENS6_INS7_ISA_SB_Lm4ESD_lEESH_SB_Lm5ESD_lEEiiiii.has_indirect_call, 0
	.section	.AMDGPU.csdata,"",@progbits
; Kernel info:
; codeLenInByte = 2848
; TotalNumSgprs: 34
; NumVgprs: 14
; ScratchSize: 0
; MemoryBound: 0
; FloatMode: 240
; IeeeMode: 1
; LDSByteSize: 0 bytes/workgroup (compile time only)
; SGPRBlocks: 4
; VGPRBlocks: 3
; NumSGPRsForWavesPerEU: 34
; NumVGPRsForWavesPerEU: 14
; Occupancy: 10
; WaveLimiterHint : 1
; COMPUTE_PGM_RSRC2:SCRATCH_EN: 0
; COMPUTE_PGM_RSRC2:USER_SGPR: 6
; COMPUTE_PGM_RSRC2:TRAP_HANDLER: 0
; COMPUTE_PGM_RSRC2:TGID_X_EN: 1
; COMPUTE_PGM_RSRC2:TGID_Y_EN: 1
; COMPUTE_PGM_RSRC2:TGID_Z_EN: 1
; COMPUTE_PGM_RSRC2:TIDIG_COMP_CNT: 0
	.section	.text._ZN2at6native12_GLOBAL__N_132replication_pad_forward_kernel3dIiEEvN5torch10headeronly6detail27GenericPackedTensorAccessorINS5_14TensorAccessorIN3c108ArrayRefIlEEKT_Lm4ENS4_16DefaultPtrTraitsElEENS_6detail16IndexBoundsCheckILm5ElEESC_Lm5ESD_lEENS6_INS7_ISA_SB_Lm4ESD_lEESH_SB_Lm5ESD_lEEiiiii,"axG",@progbits,_ZN2at6native12_GLOBAL__N_132replication_pad_forward_kernel3dIiEEvN5torch10headeronly6detail27GenericPackedTensorAccessorINS5_14TensorAccessorIN3c108ArrayRefIlEEKT_Lm4ENS4_16DefaultPtrTraitsElEENS_6detail16IndexBoundsCheckILm5ElEESC_Lm5ESD_lEENS6_INS7_ISA_SB_Lm4ESD_lEESH_SB_Lm5ESD_lEEiiiii,comdat
	.globl	_ZN2at6native12_GLOBAL__N_132replication_pad_forward_kernel3dIiEEvN5torch10headeronly6detail27GenericPackedTensorAccessorINS5_14TensorAccessorIN3c108ArrayRefIlEEKT_Lm4ENS4_16DefaultPtrTraitsElEENS_6detail16IndexBoundsCheckILm5ElEESC_Lm5ESD_lEENS6_INS7_ISA_SB_Lm4ESD_lEESH_SB_Lm5ESD_lEEiiiii ; -- Begin function _ZN2at6native12_GLOBAL__N_132replication_pad_forward_kernel3dIiEEvN5torch10headeronly6detail27GenericPackedTensorAccessorINS5_14TensorAccessorIN3c108ArrayRefIlEEKT_Lm4ENS4_16DefaultPtrTraitsElEENS_6detail16IndexBoundsCheckILm5ElEESC_Lm5ESD_lEENS6_INS7_ISA_SB_Lm4ESD_lEESH_SB_Lm5ESD_lEEiiiii
	.p2align	8
	.type	_ZN2at6native12_GLOBAL__N_132replication_pad_forward_kernel3dIiEEvN5torch10headeronly6detail27GenericPackedTensorAccessorINS5_14TensorAccessorIN3c108ArrayRefIlEEKT_Lm4ENS4_16DefaultPtrTraitsElEENS_6detail16IndexBoundsCheckILm5ElEESC_Lm5ESD_lEENS6_INS7_ISA_SB_Lm4ESD_lEESH_SB_Lm5ESD_lEEiiiii,@function
_ZN2at6native12_GLOBAL__N_132replication_pad_forward_kernel3dIiEEvN5torch10headeronly6detail27GenericPackedTensorAccessorINS5_14TensorAccessorIN3c108ArrayRefIlEEKT_Lm4ENS4_16DefaultPtrTraitsElEENS_6detail16IndexBoundsCheckILm5ElEESC_Lm5ESD_lEENS6_INS7_ISA_SB_Lm4ESD_lEESH_SB_Lm5ESD_lEEiiiii: ; @_ZN2at6native12_GLOBAL__N_132replication_pad_forward_kernel3dIiEEvN5torch10headeronly6detail27GenericPackedTensorAccessorINS5_14TensorAccessorIN3c108ArrayRefIlEEKT_Lm4ENS4_16DefaultPtrTraitsElEENS_6detail16IndexBoundsCheckILm5ElEESC_Lm5ESD_lEENS6_INS7_ISA_SB_Lm4ESD_lEESH_SB_Lm5ESD_lEEiiiii
; %bb.0:
	s_load_dword s9, s[4:5], 0xd4
	s_load_dwordx4 s[0:3], s[4:5], 0x70
	s_load_dwordx2 s[10:11], s[4:5], 0x80
	s_waitcnt lgkmcnt(0)
	s_and_b32 s9, s9, 0xffff
	s_mul_i32 s6, s6, s9
	v_add_u32_e32 v0, s6, v0
	s_mul_i32 s6, s10, s3
	s_mul_hi_u32 s9, s10, s2
	s_add_i32 s9, s9, s6
	s_mul_i32 s6, s11, s2
	s_add_i32 s9, s9, s6
	s_mul_i32 s6, s10, s2
	s_mul_i32 s1, s6, s1
	s_mul_hi_u32 s12, s6, s0
	s_add_i32 s1, s12, s1
	s_mul_i32 s12, s9, s0
	v_ashrrev_i32_e32 v1, 31, v0
	s_add_i32 s1, s1, s12
	s_mul_i32 s0, s6, s0
	v_cmp_gt_i64_e32 vcc, s[0:1], v[0:1]
	s_and_saveexec_b64 s[0:1], vcc
	s_cbranch_execz .LBB42_14
; %bb.1:
	v_or_b32_e32 v3, s11, v1
	v_mov_b32_e32 v2, 0
	v_cmp_ne_u64_e32 vcc, 0, v[2:3]
	v_ashrrev_i32_e32 v8, 31, v1
                                        ; implicit-def: $vgpr4_vgpr5
	s_and_saveexec_b64 s[0:1], vcc
	s_xor_b64 s[12:13], exec, s[0:1]
	s_cbranch_execz .LBB42_3
; %bb.2:
	s_ashr_i32 s14, s11, 31
	s_add_u32 s0, s10, s14
	s_mov_b32 s15, s14
	s_addc_u32 s1, s11, s14
	s_xor_b64 s[16:17], s[0:1], s[14:15]
	v_cvt_f32_u32_e32 v2, s16
	v_cvt_f32_u32_e32 v3, s17
	s_sub_u32 s15, 0, s16
	s_subb_u32 s18, 0, s17
	v_madmk_f32 v2, v3, 0x4f800000, v2
	v_rcp_f32_e32 v2, v2
	v_mul_f32_e32 v2, 0x5f7ffffc, v2
	v_mul_f32_e32 v3, 0x2f800000, v2
	v_trunc_f32_e32 v3, v3
	v_madmk_f32 v2, v3, 0xcf800000, v2
	v_cvt_u32_f32_e32 v3, v3
	v_cvt_u32_f32_e32 v2, v2
	v_readfirstlane_b32 s19, v3
	v_readfirstlane_b32 s0, v2
	s_mul_i32 s1, s15, s19
	s_mul_hi_u32 s21, s15, s0
	s_mul_i32 s20, s18, s0
	s_add_i32 s1, s21, s1
	s_add_i32 s1, s1, s20
	s_mul_i32 s22, s15, s0
	s_mul_i32 s21, s0, s1
	s_mul_hi_u32 s23, s0, s22
	s_mul_hi_u32 s20, s0, s1
	s_add_u32 s21, s23, s21
	s_addc_u32 s20, 0, s20
	s_mul_hi_u32 s24, s19, s22
	s_mul_i32 s22, s19, s22
	s_add_u32 s21, s21, s22
	s_mul_hi_u32 s23, s19, s1
	s_addc_u32 s20, s20, s24
	s_addc_u32 s21, s23, 0
	s_mul_i32 s1, s19, s1
	s_add_u32 s1, s20, s1
	s_addc_u32 s20, 0, s21
	s_add_u32 s21, s0, s1
	s_cselect_b64 s[0:1], -1, 0
	s_cmp_lg_u64 s[0:1], 0
	s_addc_u32 s19, s19, s20
	s_mul_i32 s0, s15, s19
	s_mul_hi_u32 s1, s15, s21
	s_add_i32 s0, s1, s0
	s_mul_i32 s18, s18, s21
	s_add_i32 s0, s0, s18
	s_mul_i32 s15, s15, s21
	s_mul_hi_u32 s18, s19, s15
	s_mul_i32 s20, s19, s15
	s_mul_i32 s23, s21, s0
	s_mul_hi_u32 s15, s21, s15
	s_mul_hi_u32 s22, s21, s0
	s_add_u32 s15, s15, s23
	s_addc_u32 s22, 0, s22
	s_add_u32 s15, s15, s20
	s_mul_hi_u32 s1, s19, s0
	s_addc_u32 s15, s22, s18
	s_addc_u32 s1, s1, 0
	s_mul_i32 s0, s19, s0
	s_add_u32 s0, s15, s0
	s_addc_u32 s15, 0, s1
	s_add_u32 s18, s21, s0
	s_cselect_b64 s[0:1], -1, 0
	s_cmp_lg_u64 s[0:1], 0
	v_add_co_u32_e32 v2, vcc, v0, v8
	s_addc_u32 s15, s19, s15
	v_xor_b32_e32 v6, v2, v8
	v_mad_u64_u32 v[2:3], s[0:1], v6, s15, 0
	v_mul_hi_u32 v5, v6, s18
	v_addc_co_u32_e32 v4, vcc, v1, v8, vcc
	v_xor_b32_e32 v7, v4, v8
	v_add_co_u32_e32 v9, vcc, v5, v2
	v_addc_co_u32_e32 v10, vcc, 0, v3, vcc
	v_mad_u64_u32 v[2:3], s[0:1], v7, s18, 0
	v_mad_u64_u32 v[4:5], s[0:1], v7, s15, 0
	v_add_co_u32_e32 v2, vcc, v9, v2
	v_addc_co_u32_e32 v2, vcc, v10, v3, vcc
	v_addc_co_u32_e32 v3, vcc, 0, v5, vcc
	v_add_co_u32_e32 v4, vcc, v2, v4
	v_addc_co_u32_e32 v5, vcc, 0, v3, vcc
	v_mul_lo_u32 v9, s17, v4
	v_mul_lo_u32 v10, s16, v5
	v_mad_u64_u32 v[2:3], s[0:1], s16, v4, 0
	v_add3_u32 v3, v3, v10, v9
	v_sub_u32_e32 v9, v7, v3
	v_mov_b32_e32 v10, s17
	v_sub_co_u32_e32 v2, vcc, v6, v2
	v_subb_co_u32_e64 v6, s[0:1], v9, v10, vcc
	v_subrev_co_u32_e64 v9, s[0:1], s16, v2
	v_subbrev_co_u32_e64 v6, s[0:1], 0, v6, s[0:1]
	v_cmp_le_u32_e64 s[0:1], s17, v6
	v_cndmask_b32_e64 v10, 0, -1, s[0:1]
	v_cmp_le_u32_e64 s[0:1], s16, v9
	v_cndmask_b32_e64 v9, 0, -1, s[0:1]
	v_cmp_eq_u32_e64 s[0:1], s17, v6
	v_cndmask_b32_e64 v6, v10, v9, s[0:1]
	v_add_co_u32_e64 v9, s[0:1], 2, v4
	v_subb_co_u32_e32 v3, vcc, v7, v3, vcc
	v_addc_co_u32_e64 v10, s[0:1], 0, v5, s[0:1]
	v_cmp_le_u32_e32 vcc, s17, v3
	v_add_co_u32_e64 v11, s[0:1], 1, v4
	v_cndmask_b32_e64 v7, 0, -1, vcc
	v_cmp_le_u32_e32 vcc, s16, v2
	v_addc_co_u32_e64 v12, s[0:1], 0, v5, s[0:1]
	v_cndmask_b32_e64 v2, 0, -1, vcc
	v_cmp_eq_u32_e32 vcc, s17, v3
	v_cmp_ne_u32_e64 s[0:1], 0, v6
	v_cndmask_b32_e32 v2, v7, v2, vcc
	v_cndmask_b32_e64 v6, v12, v10, s[0:1]
	v_cmp_ne_u32_e32 vcc, 0, v2
	v_cndmask_b32_e64 v3, v11, v9, s[0:1]
	v_cndmask_b32_e32 v2, v5, v6, vcc
	v_cndmask_b32_e32 v3, v4, v3, vcc
	v_xor_b32_e32 v5, s14, v8
	v_xor_b32_e32 v3, v3, v5
	;; [unrolled: 1-line block ×3, first 2 shown]
	v_sub_co_u32_e32 v4, vcc, v3, v5
	v_subb_co_u32_e32 v5, vcc, v2, v5, vcc
.LBB42_3:
	s_andn2_saveexec_b64 s[0:1], s[12:13]
	s_cbranch_execz .LBB42_5
; %bb.4:
	v_cvt_f32_u32_e32 v2, s10
	s_sub_i32 s12, 0, s10
	v_rcp_iflag_f32_e32 v2, v2
	v_mul_f32_e32 v2, 0x4f7ffffe, v2
	v_cvt_u32_f32_e32 v2, v2
	v_mul_lo_u32 v3, s12, v2
	v_mul_hi_u32 v3, v2, v3
	v_add_u32_e32 v2, v2, v3
	v_mul_hi_u32 v2, v0, v2
	v_mul_lo_u32 v3, v2, s10
	v_add_u32_e32 v4, 1, v2
	v_sub_u32_e32 v3, v0, v3
	v_subrev_u32_e32 v5, s10, v3
	v_cmp_le_u32_e32 vcc, s10, v3
	v_cndmask_b32_e32 v3, v3, v5, vcc
	v_cndmask_b32_e32 v2, v2, v4, vcc
	v_add_u32_e32 v4, 1, v2
	v_cmp_le_u32_e32 vcc, s10, v3
	v_cndmask_b32_e32 v4, v2, v4, vcc
	v_mov_b32_e32 v5, 0
.LBB42_5:
	s_or_b64 exec, exec, s[0:1]
	v_or_b32_e32 v3, s3, v5
	v_mov_b32_e32 v2, 0
	v_cmp_ne_u64_e32 vcc, 0, v[2:3]
                                        ; implicit-def: $vgpr2_vgpr3
	s_and_saveexec_b64 s[0:1], vcc
	s_xor_b64 s[12:13], exec, s[0:1]
	s_cbranch_execz .LBB42_7
; %bb.6:
	s_ashr_i32 s0, s3, 31
	s_add_u32 s14, s2, s0
	s_mov_b32 s1, s0
	s_addc_u32 s15, s3, s0
	s_xor_b64 s[14:15], s[14:15], s[0:1]
	v_cvt_f32_u32_e32 v2, s14
	v_cvt_f32_u32_e32 v3, s15
	s_sub_u32 s3, 0, s14
	s_subb_u32 s16, 0, s15
	v_ashrrev_i32_e32 v9, 31, v5
	v_madmk_f32 v2, v3, 0x4f800000, v2
	v_rcp_f32_e32 v2, v2
	v_mul_f32_e32 v2, 0x5f7ffffc, v2
	v_mul_f32_e32 v3, 0x2f800000, v2
	v_trunc_f32_e32 v3, v3
	v_madmk_f32 v2, v3, 0xcf800000, v2
	v_cvt_u32_f32_e32 v3, v3
	v_cvt_u32_f32_e32 v2, v2
	v_readfirstlane_b32 s17, v3
	v_readfirstlane_b32 s0, v2
	s_mul_i32 s1, s3, s17
	s_mul_hi_u32 s19, s3, s0
	s_mul_i32 s18, s16, s0
	s_add_i32 s1, s19, s1
	s_add_i32 s1, s1, s18
	s_mul_i32 s20, s3, s0
	s_mul_i32 s19, s0, s1
	s_mul_hi_u32 s21, s0, s20
	s_mul_hi_u32 s18, s0, s1
	s_add_u32 s19, s21, s19
	s_addc_u32 s18, 0, s18
	s_mul_hi_u32 s22, s17, s20
	s_mul_i32 s20, s17, s20
	s_add_u32 s19, s19, s20
	s_mul_hi_u32 s21, s17, s1
	s_addc_u32 s18, s18, s22
	s_addc_u32 s19, s21, 0
	s_mul_i32 s1, s17, s1
	s_add_u32 s1, s18, s1
	s_addc_u32 s18, 0, s19
	s_add_u32 s19, s0, s1
	s_cselect_b64 s[0:1], -1, 0
	s_cmp_lg_u64 s[0:1], 0
	s_addc_u32 s17, s17, s18
	s_mul_i32 s0, s3, s17
	s_mul_hi_u32 s1, s3, s19
	s_add_i32 s0, s1, s0
	s_mul_i32 s16, s16, s19
	s_add_i32 s0, s0, s16
	s_mul_i32 s3, s3, s19
	s_mul_hi_u32 s16, s17, s3
	s_mul_i32 s18, s17, s3
	s_mul_i32 s21, s19, s0
	s_mul_hi_u32 s3, s19, s3
	s_mul_hi_u32 s20, s19, s0
	s_add_u32 s3, s3, s21
	s_addc_u32 s20, 0, s20
	s_add_u32 s3, s3, s18
	s_mul_hi_u32 s1, s17, s0
	s_addc_u32 s3, s20, s16
	s_addc_u32 s1, s1, 0
	s_mul_i32 s0, s17, s0
	s_add_u32 s0, s3, s0
	s_addc_u32 s3, 0, s1
	s_add_u32 s16, s19, s0
	s_cselect_b64 s[0:1], -1, 0
	s_cmp_lg_u64 s[0:1], 0
	v_add_co_u32_e32 v2, vcc, v4, v9
	s_addc_u32 s3, s17, s3
	v_xor_b32_e32 v10, v2, v9
	v_mad_u64_u32 v[2:3], s[0:1], v10, s3, 0
	v_mul_hi_u32 v7, v10, s16
	v_addc_co_u32_e32 v6, vcc, v5, v9, vcc
	v_xor_b32_e32 v11, v6, v9
	v_add_co_u32_e32 v12, vcc, v7, v2
	v_addc_co_u32_e32 v13, vcc, 0, v3, vcc
	v_mad_u64_u32 v[2:3], s[0:1], v11, s16, 0
	v_mad_u64_u32 v[6:7], s[0:1], v11, s3, 0
	v_add_co_u32_e32 v2, vcc, v12, v2
	v_addc_co_u32_e32 v2, vcc, v13, v3, vcc
	v_addc_co_u32_e32 v3, vcc, 0, v7, vcc
	v_add_co_u32_e32 v2, vcc, v2, v6
	v_addc_co_u32_e32 v3, vcc, 0, v3, vcc
	v_mul_lo_u32 v6, s15, v2
	v_mul_lo_u32 v7, s14, v3
	v_mad_u64_u32 v[2:3], s[0:1], s14, v2, 0
	v_add3_u32 v3, v3, v7, v6
	v_sub_u32_e32 v6, v11, v3
	v_mov_b32_e32 v7, s15
	v_sub_co_u32_e32 v2, vcc, v10, v2
	v_subb_co_u32_e64 v6, s[0:1], v6, v7, vcc
	v_subrev_co_u32_e64 v7, s[0:1], s14, v2
	v_subbrev_co_u32_e64 v6, s[0:1], 0, v6, s[0:1]
	v_cmp_le_u32_e64 s[0:1], s15, v6
	v_subb_co_u32_e32 v3, vcc, v11, v3, vcc
	v_cndmask_b32_e64 v10, 0, -1, s[0:1]
	v_cmp_le_u32_e64 s[0:1], s14, v7
	v_cmp_le_u32_e32 vcc, s15, v3
	v_cndmask_b32_e64 v12, 0, -1, s[0:1]
	v_cmp_eq_u32_e64 s[0:1], s15, v6
	v_cndmask_b32_e64 v11, 0, -1, vcc
	v_cmp_le_u32_e32 vcc, s14, v2
	v_cndmask_b32_e64 v6, v10, v12, s[0:1]
	v_cndmask_b32_e64 v12, 0, -1, vcc
	v_cmp_eq_u32_e32 vcc, s15, v3
	v_subrev_co_u32_e64 v10, s[0:1], s14, v7
	v_cndmask_b32_e32 v3, v11, v12, vcc
	v_cmp_ne_u32_e32 vcc, 0, v6
	v_cndmask_b32_e32 v6, v7, v10, vcc
	v_cmp_ne_u32_e32 vcc, 0, v3
	v_cndmask_b32_e32 v2, v2, v6, vcc
	v_xor_b32_e32 v2, v2, v9
	v_sub_co_u32_e32 v2, vcc, v2, v9
.LBB42_7:
	s_andn2_saveexec_b64 s[0:1], s[12:13]
	s_cbranch_execz .LBB42_9
; %bb.8:
	v_cvt_f32_u32_e32 v2, s2
	s_sub_i32 s3, 0, s2
	v_rcp_iflag_f32_e32 v2, v2
	v_mul_f32_e32 v2, 0x4f7ffffe, v2
	v_cvt_u32_f32_e32 v2, v2
	v_mul_lo_u32 v3, s3, v2
	v_mul_hi_u32 v3, v2, v3
	v_add_u32_e32 v2, v2, v3
	v_mul_hi_u32 v2, v4, v2
	v_mul_lo_u32 v2, v2, s2
	v_sub_u32_e32 v2, v4, v2
	v_subrev_u32_e32 v3, s2, v2
	v_cmp_le_u32_e32 vcc, s2, v2
	v_cndmask_b32_e32 v2, v2, v3, vcc
	v_subrev_u32_e32 v3, s2, v2
	v_cmp_le_u32_e32 vcc, s2, v2
	v_cndmask_b32_e32 v2, v2, v3, vcc
.LBB42_9:
	s_or_b64 exec, exec, s[0:1]
	v_or_b32_e32 v7, s9, v1
	v_mov_b32_e32 v6, 0
	v_cmp_ne_u64_e32 vcc, 0, v[6:7]
                                        ; implicit-def: $vgpr6_vgpr7
	s_and_saveexec_b64 s[0:1], vcc
	s_xor_b64 s[2:3], exec, s[0:1]
	s_cbranch_execz .LBB42_11
; %bb.10:
	s_ashr_i32 s12, s9, 31
	s_add_u32 s0, s6, s12
	s_mov_b32 s13, s12
	s_addc_u32 s1, s9, s12
	s_xor_b64 s[14:15], s[0:1], s[12:13]
	v_cvt_f32_u32_e32 v3, s14
	v_cvt_f32_u32_e32 v6, s15
	s_sub_u32 s9, 0, s14
	s_subb_u32 s13, 0, s15
	v_madmk_f32 v3, v6, 0x4f800000, v3
	v_rcp_f32_e32 v3, v3
	v_mul_f32_e32 v3, 0x5f7ffffc, v3
	v_mul_f32_e32 v6, 0x2f800000, v3
	v_trunc_f32_e32 v6, v6
	v_madmk_f32 v3, v6, 0xcf800000, v3
	v_cvt_u32_f32_e32 v6, v6
	v_cvt_u32_f32_e32 v3, v3
	v_readfirstlane_b32 s16, v6
	v_readfirstlane_b32 s0, v3
	s_mul_i32 s1, s9, s16
	s_mul_hi_u32 s18, s9, s0
	s_mul_i32 s17, s13, s0
	s_add_i32 s1, s18, s1
	s_add_i32 s1, s1, s17
	s_mul_i32 s19, s9, s0
	s_mul_i32 s18, s0, s1
	s_mul_hi_u32 s20, s0, s19
	s_mul_hi_u32 s17, s0, s1
	s_add_u32 s18, s20, s18
	s_addc_u32 s17, 0, s17
	s_mul_hi_u32 s21, s16, s19
	s_mul_i32 s19, s16, s19
	s_add_u32 s18, s18, s19
	s_mul_hi_u32 s20, s16, s1
	s_addc_u32 s17, s17, s21
	s_addc_u32 s18, s20, 0
	s_mul_i32 s1, s16, s1
	s_add_u32 s1, s17, s1
	s_addc_u32 s17, 0, s18
	s_add_u32 s18, s0, s1
	s_cselect_b64 s[0:1], -1, 0
	s_cmp_lg_u64 s[0:1], 0
	s_addc_u32 s16, s16, s17
	s_mul_i32 s0, s9, s16
	s_mul_hi_u32 s1, s9, s18
	s_add_i32 s0, s1, s0
	s_mul_i32 s13, s13, s18
	s_add_i32 s0, s0, s13
	s_mul_i32 s9, s9, s18
	s_mul_hi_u32 s13, s16, s9
	s_mul_i32 s17, s16, s9
	s_mul_i32 s20, s18, s0
	s_mul_hi_u32 s9, s18, s9
	s_mul_hi_u32 s19, s18, s0
	s_add_u32 s9, s9, s20
	s_addc_u32 s19, 0, s19
	s_add_u32 s9, s9, s17
	s_mul_hi_u32 s1, s16, s0
	s_addc_u32 s9, s19, s13
	s_addc_u32 s1, s1, 0
	s_mul_i32 s0, s16, s0
	s_add_u32 s0, s9, s0
	s_addc_u32 s9, 0, s1
	s_add_u32 s13, s18, s0
	s_cselect_b64 s[0:1], -1, 0
	s_cmp_lg_u64 s[0:1], 0
	v_add_co_u32_e32 v3, vcc, v0, v8
	s_addc_u32 s9, s16, s9
	v_xor_b32_e32 v3, v3, v8
	v_mad_u64_u32 v[6:7], s[0:1], v3, s9, 0
	v_mul_hi_u32 v10, v3, s13
	v_addc_co_u32_e32 v9, vcc, v1, v8, vcc
	v_xor_b32_e32 v11, v9, v8
	v_add_co_u32_e32 v12, vcc, v10, v6
	v_addc_co_u32_e32 v13, vcc, 0, v7, vcc
	v_mad_u64_u32 v[6:7], s[0:1], v11, s13, 0
	v_mad_u64_u32 v[9:10], s[0:1], v11, s9, 0
	v_add_co_u32_e32 v6, vcc, v12, v6
	v_addc_co_u32_e32 v6, vcc, v13, v7, vcc
	v_addc_co_u32_e32 v7, vcc, 0, v10, vcc
	v_add_co_u32_e32 v9, vcc, v6, v9
	v_addc_co_u32_e32 v6, vcc, 0, v7, vcc
	v_mul_lo_u32 v10, s15, v9
	v_mul_lo_u32 v12, s14, v6
	v_mad_u64_u32 v[6:7], s[0:1], s14, v9, 0
	v_add3_u32 v7, v7, v12, v10
	v_sub_u32_e32 v10, v11, v7
	v_mov_b32_e32 v12, s15
	v_sub_co_u32_e32 v3, vcc, v3, v6
	v_subb_co_u32_e64 v6, s[0:1], v10, v12, vcc
	v_subrev_co_u32_e64 v10, s[0:1], s14, v3
	v_subbrev_co_u32_e64 v6, s[0:1], 0, v6, s[0:1]
	v_cmp_le_u32_e64 s[0:1], s15, v6
	v_subb_co_u32_e32 v7, vcc, v11, v7, vcc
	v_cndmask_b32_e64 v12, 0, -1, s[0:1]
	v_cmp_le_u32_e64 s[0:1], s14, v10
	v_cmp_le_u32_e32 vcc, s15, v7
	v_cndmask_b32_e64 v10, 0, -1, s[0:1]
	v_cmp_eq_u32_e64 s[0:1], s15, v6
	v_cndmask_b32_e64 v11, 0, -1, vcc
	v_cmp_le_u32_e32 vcc, s14, v3
	v_cndmask_b32_e64 v6, v12, v10, s[0:1]
	v_cndmask_b32_e64 v3, 0, -1, vcc
	v_cmp_eq_u32_e32 vcc, s15, v7
	v_add_co_u32_e64 v10, s[0:1], 2, v9
	v_add_co_u32_e64 v12, s[0:1], 1, v9
	v_cndmask_b32_e32 v3, v11, v3, vcc
	v_cmp_ne_u32_e32 vcc, 0, v6
	v_cndmask_b32_e32 v6, v12, v10, vcc
	v_cmp_ne_u32_e32 vcc, 0, v3
	v_cndmask_b32_e32 v3, v9, v6, vcc
	v_xor_b32_e32 v6, s12, v8
	v_xor_b32_e32 v3, v3, v6
	v_sub_co_u32_e32 v6, vcc, v3, v6
.LBB42_11:
	s_andn2_saveexec_b64 s[0:1], s[2:3]
	s_cbranch_execz .LBB42_13
; %bb.12:
	v_cvt_f32_u32_e32 v3, s6
	s_sub_i32 s2, 0, s6
	v_rcp_iflag_f32_e32 v3, v3
	v_mul_f32_e32 v3, 0x4f7ffffe, v3
	v_cvt_u32_f32_e32 v3, v3
	v_mul_lo_u32 v6, s2, v3
	v_mul_hi_u32 v6, v3, v6
	v_add_u32_e32 v3, v3, v6
	v_mul_hi_u32 v3, v0, v3
	v_mul_lo_u32 v6, v3, s6
	v_add_u32_e32 v7, 1, v3
	v_sub_u32_e32 v6, v0, v6
	v_subrev_u32_e32 v8, s6, v6
	v_cmp_le_u32_e32 vcc, s6, v6
	v_cndmask_b32_e32 v6, v6, v8, vcc
	v_cndmask_b32_e32 v3, v3, v7, vcc
	v_add_u32_e32 v7, 1, v3
	v_cmp_le_u32_e32 vcc, s6, v6
	v_cndmask_b32_e32 v6, v3, v7, vcc
.LBB42_13:
	s_or_b64 exec, exec, s[0:1]
	v_mul_lo_u32 v7, v4, s11
	v_mad_u64_u32 v[3:4], s[0:1], v4, s10, 0
	s_load_dwordx4 s[0:3], s[4:5], 0xb0
	s_load_dword s6, s[4:5], 0xc0
	v_mul_lo_u32 v5, v5, s10
	v_sub_co_u32_e32 v0, vcc, v0, v3
	s_waitcnt lgkmcnt(0)
	s_add_i32 s27, s3, s7
	s_add_i32 s26, s6, s8
	s_load_dwordx16 s[8:23], s[4:5], 0x18
	s_sub_i32 s3, 0, s2
	s_max_i32 s30, s2, 0
	v_max_i32_e32 v3, s2, v0
	s_max_i32 s3, s3, 0
	s_waitcnt lgkmcnt(0)
	s_add_i32 s2, s2, s12
	s_add_i32 s2, s2, -1
	v_min_i32_e32 v3, s2, v3
	s_sub_i32 s2, s3, s30
	v_add3_u32 v4, v4, v7, v5
	s_sub_i32 s6, 0, s1
	s_max_i32 s9, s1, 0
	v_add_u32_e32 v5, s2, v3
	v_max_i32_e32 v3, s1, v2
	s_add_i32 s1, s1, s10
	s_max_i32 s28, s6, 0
	s_add_i32 s1, s1, -1
	v_min_i32_e32 v3, s1, v3
	s_sub_i32 s1, s28, s9
	s_sub_i32 s6, 0, s0
	s_max_i32 s11, s0, 0
	v_add_u32_e32 v7, s1, v3
	v_max_i32_e32 v3, s0, v6
	s_add_i32 s0, s0, s8
	s_max_i32 s29, s6, 0
	s_add_i32 s0, s0, -1
	s_load_dwordx2 s[6:7], s[4:5], 0x0
	v_min_i32_e32 v3, s0, v3
	s_sub_i32 s0, s29, s11
	s_ashr_i32 s28, s26, 31
	v_add_u32_e32 v3, s0, v3
	s_mul_i32 s0, s14, s28
	s_mul_hi_u32 s1, s14, s26
	s_add_i32 s0, s1, s0
	s_mul_i32 s1, s15, s26
	s_add_i32 s1, s0, s1
	s_mul_i32 s0, s14, s26
	s_lshl_b64 s[0:1], s[0:1], 2
	s_waitcnt lgkmcnt(0)
	s_add_u32 s6, s6, s0
	s_addc_u32 s7, s7, s1
	s_ashr_i32 s29, s27, 31
	v_subb_co_u32_e32 v1, vcc, v1, v4, vcc
	s_mul_i32 s0, s16, s29
	s_mul_hi_u32 s1, s16, s27
	v_ashrrev_i32_e32 v4, 31, v3
	s_add_i32 s0, s1, s0
	s_mul_i32 s1, s17, s27
	v_mul_lo_u32 v8, s18, v4
	v_mul_lo_u32 v9, s19, v3
	v_mad_u64_u32 v[3:4], s[2:3], s18, v3, 0
	s_add_i32 s1, s0, s1
	s_mul_i32 s0, s16, s27
	s_lshl_b64 s[0:1], s[0:1], 2
	s_add_u32 s2, s6, s0
	s_addc_u32 s0, s7, s1
	v_add3_u32 v4, v4, v8, v9
	v_ashrrev_i32_e32 v8, 31, v7
	v_mov_b32_e32 v9, s0
	v_mul_lo_u32 v10, s20, v8
	v_mul_lo_u32 v11, s21, v7
	v_mad_u64_u32 v[7:8], s[0:1], s20, v7, 0
	v_lshlrev_b64 v[3:4], 2, v[3:4]
	s_load_dwordx2 s[24:25], s[4:5], 0xa8
	v_add_co_u32_e32 v12, vcc, s2, v3
	v_add3_u32 v8, v8, v10, v11
	v_addc_co_u32_e32 v9, vcc, v9, v4, vcc
	v_lshlrev_b64 v[3:4], 2, v[7:8]
	v_ashrrev_i32_e32 v7, 31, v5
	v_mul_lo_u32 v10, s22, v7
	v_mul_lo_u32 v11, s23, v5
	v_mad_u64_u32 v[7:8], s[0:1], s22, v5, 0
	v_add_co_u32_e32 v5, vcc, v12, v3
	v_add3_u32 v8, v8, v10, v11
	v_addc_co_u32_e32 v9, vcc, v9, v4, vcc
	v_lshlrev_b64 v[3:4], 2, v[7:8]
	v_add_co_u32_e32 v3, vcc, v5, v3
	v_addc_co_u32_e32 v4, vcc, v9, v4, vcc
	global_load_dword v7, v[3:4], off
	s_load_dwordx8 s[8:15], s[4:5], 0x88
	s_load_dwordx2 s[0:1], s[4:5], 0x58
	v_ashrrev_i32_e32 v3, 31, v6
	s_waitcnt lgkmcnt(0)
	s_mul_i32 s2, s8, s28
	s_mul_hi_u32 s3, s8, s26
	s_add_i32 s2, s3, s2
	s_mul_i32 s3, s9, s26
	s_add_i32 s3, s2, s3
	s_mul_i32 s2, s8, s26
	s_lshl_b64 s[2:3], s[2:3], 2
	s_add_u32 s4, s0, s2
	s_addc_u32 s5, s1, s3
	s_mul_i32 s0, s10, s29
	s_mul_hi_u32 s1, s10, s27
	s_add_i32 s0, s1, s0
	s_mul_i32 s1, s11, s27
	v_mul_lo_u32 v5, s13, v6
	v_mul_lo_u32 v8, s12, v3
	v_mad_u64_u32 v[3:4], s[2:3], s12, v6, 0
	s_add_i32 s1, s0, s1
	s_mul_i32 s0, s10, s27
	s_lshl_b64 s[0:1], s[0:1], 2
	s_add_u32 s2, s4, s0
	s_addc_u32 s0, s5, s1
	v_add3_u32 v4, v4, v8, v5
	v_ashrrev_i32_e32 v5, 31, v2
	v_mov_b32_e32 v8, s0
	v_mul_lo_u32 v9, s15, v2
	v_mul_lo_u32 v10, s14, v5
	v_mad_u64_u32 v[5:6], s[0:1], s14, v2, 0
	v_lshlrev_b64 v[3:4], 2, v[3:4]
	v_add3_u32 v6, v6, v10, v9
	v_add_co_u32_e32 v11, vcc, s2, v3
	v_lshlrev_b64 v[2:3], 2, v[5:6]
	v_mul_lo_u32 v5, s25, v0
	v_mul_lo_u32 v6, s24, v1
	v_mad_u64_u32 v[0:1], s[0:1], s24, v0, 0
	v_addc_co_u32_e32 v4, vcc, v8, v4, vcc
	v_add3_u32 v1, v1, v6, v5
	v_add_co_u32_e32 v2, vcc, v11, v2
	v_lshlrev_b64 v[0:1], 2, v[0:1]
	v_addc_co_u32_e32 v3, vcc, v4, v3, vcc
	v_add_co_u32_e32 v0, vcc, v2, v0
	v_addc_co_u32_e32 v1, vcc, v3, v1, vcc
	s_waitcnt vmcnt(0)
	global_store_dword v[0:1], v7, off
.LBB42_14:
	s_endpgm
	.section	.rodata,"a",@progbits
	.p2align	6, 0x0
	.amdhsa_kernel _ZN2at6native12_GLOBAL__N_132replication_pad_forward_kernel3dIiEEvN5torch10headeronly6detail27GenericPackedTensorAccessorINS5_14TensorAccessorIN3c108ArrayRefIlEEKT_Lm4ENS4_16DefaultPtrTraitsElEENS_6detail16IndexBoundsCheckILm5ElEESC_Lm5ESD_lEENS6_INS7_ISA_SB_Lm4ESD_lEESH_SB_Lm5ESD_lEEiiiii
		.amdhsa_group_segment_fixed_size 0
		.amdhsa_private_segment_fixed_size 0
		.amdhsa_kernarg_size 456
		.amdhsa_user_sgpr_count 6
		.amdhsa_user_sgpr_private_segment_buffer 1
		.amdhsa_user_sgpr_dispatch_ptr 0
		.amdhsa_user_sgpr_queue_ptr 0
		.amdhsa_user_sgpr_kernarg_segment_ptr 1
		.amdhsa_user_sgpr_dispatch_id 0
		.amdhsa_user_sgpr_flat_scratch_init 0
		.amdhsa_user_sgpr_private_segment_size 0
		.amdhsa_uses_dynamic_stack 0
		.amdhsa_system_sgpr_private_segment_wavefront_offset 0
		.amdhsa_system_sgpr_workgroup_id_x 1
		.amdhsa_system_sgpr_workgroup_id_y 1
		.amdhsa_system_sgpr_workgroup_id_z 1
		.amdhsa_system_sgpr_workgroup_info 0
		.amdhsa_system_vgpr_workitem_id 0
		.amdhsa_next_free_vgpr 14
		.amdhsa_next_free_sgpr 31
		.amdhsa_reserve_vcc 1
		.amdhsa_reserve_flat_scratch 0
		.amdhsa_float_round_mode_32 0
		.amdhsa_float_round_mode_16_64 0
		.amdhsa_float_denorm_mode_32 3
		.amdhsa_float_denorm_mode_16_64 3
		.amdhsa_dx10_clamp 1
		.amdhsa_ieee_mode 1
		.amdhsa_fp16_overflow 0
		.amdhsa_exception_fp_ieee_invalid_op 0
		.amdhsa_exception_fp_denorm_src 0
		.amdhsa_exception_fp_ieee_div_zero 0
		.amdhsa_exception_fp_ieee_overflow 0
		.amdhsa_exception_fp_ieee_underflow 0
		.amdhsa_exception_fp_ieee_inexact 0
		.amdhsa_exception_int_div_zero 0
	.end_amdhsa_kernel
	.section	.text._ZN2at6native12_GLOBAL__N_132replication_pad_forward_kernel3dIiEEvN5torch10headeronly6detail27GenericPackedTensorAccessorINS5_14TensorAccessorIN3c108ArrayRefIlEEKT_Lm4ENS4_16DefaultPtrTraitsElEENS_6detail16IndexBoundsCheckILm5ElEESC_Lm5ESD_lEENS6_INS7_ISA_SB_Lm4ESD_lEESH_SB_Lm5ESD_lEEiiiii,"axG",@progbits,_ZN2at6native12_GLOBAL__N_132replication_pad_forward_kernel3dIiEEvN5torch10headeronly6detail27GenericPackedTensorAccessorINS5_14TensorAccessorIN3c108ArrayRefIlEEKT_Lm4ENS4_16DefaultPtrTraitsElEENS_6detail16IndexBoundsCheckILm5ElEESC_Lm5ESD_lEENS6_INS7_ISA_SB_Lm4ESD_lEESH_SB_Lm5ESD_lEEiiiii,comdat
.Lfunc_end42:
	.size	_ZN2at6native12_GLOBAL__N_132replication_pad_forward_kernel3dIiEEvN5torch10headeronly6detail27GenericPackedTensorAccessorINS5_14TensorAccessorIN3c108ArrayRefIlEEKT_Lm4ENS4_16DefaultPtrTraitsElEENS_6detail16IndexBoundsCheckILm5ElEESC_Lm5ESD_lEENS6_INS7_ISA_SB_Lm4ESD_lEESH_SB_Lm5ESD_lEEiiiii, .Lfunc_end42-_ZN2at6native12_GLOBAL__N_132replication_pad_forward_kernel3dIiEEvN5torch10headeronly6detail27GenericPackedTensorAccessorINS5_14TensorAccessorIN3c108ArrayRefIlEEKT_Lm4ENS4_16DefaultPtrTraitsElEENS_6detail16IndexBoundsCheckILm5ElEESC_Lm5ESD_lEENS6_INS7_ISA_SB_Lm4ESD_lEESH_SB_Lm5ESD_lEEiiiii
                                        ; -- End function
	.set _ZN2at6native12_GLOBAL__N_132replication_pad_forward_kernel3dIiEEvN5torch10headeronly6detail27GenericPackedTensorAccessorINS5_14TensorAccessorIN3c108ArrayRefIlEEKT_Lm4ENS4_16DefaultPtrTraitsElEENS_6detail16IndexBoundsCheckILm5ElEESC_Lm5ESD_lEENS6_INS7_ISA_SB_Lm4ESD_lEESH_SB_Lm5ESD_lEEiiiii.num_vgpr, 14
	.set _ZN2at6native12_GLOBAL__N_132replication_pad_forward_kernel3dIiEEvN5torch10headeronly6detail27GenericPackedTensorAccessorINS5_14TensorAccessorIN3c108ArrayRefIlEEKT_Lm4ENS4_16DefaultPtrTraitsElEENS_6detail16IndexBoundsCheckILm5ElEESC_Lm5ESD_lEENS6_INS7_ISA_SB_Lm4ESD_lEESH_SB_Lm5ESD_lEEiiiii.num_agpr, 0
	.set _ZN2at6native12_GLOBAL__N_132replication_pad_forward_kernel3dIiEEvN5torch10headeronly6detail27GenericPackedTensorAccessorINS5_14TensorAccessorIN3c108ArrayRefIlEEKT_Lm4ENS4_16DefaultPtrTraitsElEENS_6detail16IndexBoundsCheckILm5ElEESC_Lm5ESD_lEENS6_INS7_ISA_SB_Lm4ESD_lEESH_SB_Lm5ESD_lEEiiiii.numbered_sgpr, 31
	.set _ZN2at6native12_GLOBAL__N_132replication_pad_forward_kernel3dIiEEvN5torch10headeronly6detail27GenericPackedTensorAccessorINS5_14TensorAccessorIN3c108ArrayRefIlEEKT_Lm4ENS4_16DefaultPtrTraitsElEENS_6detail16IndexBoundsCheckILm5ElEESC_Lm5ESD_lEENS6_INS7_ISA_SB_Lm4ESD_lEESH_SB_Lm5ESD_lEEiiiii.num_named_barrier, 0
	.set _ZN2at6native12_GLOBAL__N_132replication_pad_forward_kernel3dIiEEvN5torch10headeronly6detail27GenericPackedTensorAccessorINS5_14TensorAccessorIN3c108ArrayRefIlEEKT_Lm4ENS4_16DefaultPtrTraitsElEENS_6detail16IndexBoundsCheckILm5ElEESC_Lm5ESD_lEENS6_INS7_ISA_SB_Lm4ESD_lEESH_SB_Lm5ESD_lEEiiiii.private_seg_size, 0
	.set _ZN2at6native12_GLOBAL__N_132replication_pad_forward_kernel3dIiEEvN5torch10headeronly6detail27GenericPackedTensorAccessorINS5_14TensorAccessorIN3c108ArrayRefIlEEKT_Lm4ENS4_16DefaultPtrTraitsElEENS_6detail16IndexBoundsCheckILm5ElEESC_Lm5ESD_lEENS6_INS7_ISA_SB_Lm4ESD_lEESH_SB_Lm5ESD_lEEiiiii.uses_vcc, 1
	.set _ZN2at6native12_GLOBAL__N_132replication_pad_forward_kernel3dIiEEvN5torch10headeronly6detail27GenericPackedTensorAccessorINS5_14TensorAccessorIN3c108ArrayRefIlEEKT_Lm4ENS4_16DefaultPtrTraitsElEENS_6detail16IndexBoundsCheckILm5ElEESC_Lm5ESD_lEENS6_INS7_ISA_SB_Lm4ESD_lEESH_SB_Lm5ESD_lEEiiiii.uses_flat_scratch, 0
	.set _ZN2at6native12_GLOBAL__N_132replication_pad_forward_kernel3dIiEEvN5torch10headeronly6detail27GenericPackedTensorAccessorINS5_14TensorAccessorIN3c108ArrayRefIlEEKT_Lm4ENS4_16DefaultPtrTraitsElEENS_6detail16IndexBoundsCheckILm5ElEESC_Lm5ESD_lEENS6_INS7_ISA_SB_Lm4ESD_lEESH_SB_Lm5ESD_lEEiiiii.has_dyn_sized_stack, 0
	.set _ZN2at6native12_GLOBAL__N_132replication_pad_forward_kernel3dIiEEvN5torch10headeronly6detail27GenericPackedTensorAccessorINS5_14TensorAccessorIN3c108ArrayRefIlEEKT_Lm4ENS4_16DefaultPtrTraitsElEENS_6detail16IndexBoundsCheckILm5ElEESC_Lm5ESD_lEENS6_INS7_ISA_SB_Lm4ESD_lEESH_SB_Lm5ESD_lEEiiiii.has_recursion, 0
	.set _ZN2at6native12_GLOBAL__N_132replication_pad_forward_kernel3dIiEEvN5torch10headeronly6detail27GenericPackedTensorAccessorINS5_14TensorAccessorIN3c108ArrayRefIlEEKT_Lm4ENS4_16DefaultPtrTraitsElEENS_6detail16IndexBoundsCheckILm5ElEESC_Lm5ESD_lEENS6_INS7_ISA_SB_Lm4ESD_lEESH_SB_Lm5ESD_lEEiiiii.has_indirect_call, 0
	.section	.AMDGPU.csdata,"",@progbits
; Kernel info:
; codeLenInByte = 2952
; TotalNumSgprs: 35
; NumVgprs: 14
; ScratchSize: 0
; MemoryBound: 0
; FloatMode: 240
; IeeeMode: 1
; LDSByteSize: 0 bytes/workgroup (compile time only)
; SGPRBlocks: 4
; VGPRBlocks: 3
; NumSGPRsForWavesPerEU: 35
; NumVGPRsForWavesPerEU: 14
; Occupancy: 10
; WaveLimiterHint : 1
; COMPUTE_PGM_RSRC2:SCRATCH_EN: 0
; COMPUTE_PGM_RSRC2:USER_SGPR: 6
; COMPUTE_PGM_RSRC2:TRAP_HANDLER: 0
; COMPUTE_PGM_RSRC2:TGID_X_EN: 1
; COMPUTE_PGM_RSRC2:TGID_Y_EN: 1
; COMPUTE_PGM_RSRC2:TGID_Z_EN: 1
; COMPUTE_PGM_RSRC2:TIDIG_COMP_CNT: 0
	.section	.text._ZN2at6native12_GLOBAL__N_132replication_pad_forward_kernel3dIlEEvN5torch10headeronly6detail27GenericPackedTensorAccessorINS5_14TensorAccessorIN3c108ArrayRefIlEEKT_Lm4ENS4_16DefaultPtrTraitsElEENS_6detail16IndexBoundsCheckILm5ElEESC_Lm5ESD_lEENS6_INS7_ISA_SB_Lm4ESD_lEESH_SB_Lm5ESD_lEEiiiii,"axG",@progbits,_ZN2at6native12_GLOBAL__N_132replication_pad_forward_kernel3dIlEEvN5torch10headeronly6detail27GenericPackedTensorAccessorINS5_14TensorAccessorIN3c108ArrayRefIlEEKT_Lm4ENS4_16DefaultPtrTraitsElEENS_6detail16IndexBoundsCheckILm5ElEESC_Lm5ESD_lEENS6_INS7_ISA_SB_Lm4ESD_lEESH_SB_Lm5ESD_lEEiiiii,comdat
	.globl	_ZN2at6native12_GLOBAL__N_132replication_pad_forward_kernel3dIlEEvN5torch10headeronly6detail27GenericPackedTensorAccessorINS5_14TensorAccessorIN3c108ArrayRefIlEEKT_Lm4ENS4_16DefaultPtrTraitsElEENS_6detail16IndexBoundsCheckILm5ElEESC_Lm5ESD_lEENS6_INS7_ISA_SB_Lm4ESD_lEESH_SB_Lm5ESD_lEEiiiii ; -- Begin function _ZN2at6native12_GLOBAL__N_132replication_pad_forward_kernel3dIlEEvN5torch10headeronly6detail27GenericPackedTensorAccessorINS5_14TensorAccessorIN3c108ArrayRefIlEEKT_Lm4ENS4_16DefaultPtrTraitsElEENS_6detail16IndexBoundsCheckILm5ElEESC_Lm5ESD_lEENS6_INS7_ISA_SB_Lm4ESD_lEESH_SB_Lm5ESD_lEEiiiii
	.p2align	8
	.type	_ZN2at6native12_GLOBAL__N_132replication_pad_forward_kernel3dIlEEvN5torch10headeronly6detail27GenericPackedTensorAccessorINS5_14TensorAccessorIN3c108ArrayRefIlEEKT_Lm4ENS4_16DefaultPtrTraitsElEENS_6detail16IndexBoundsCheckILm5ElEESC_Lm5ESD_lEENS6_INS7_ISA_SB_Lm4ESD_lEESH_SB_Lm5ESD_lEEiiiii,@function
_ZN2at6native12_GLOBAL__N_132replication_pad_forward_kernel3dIlEEvN5torch10headeronly6detail27GenericPackedTensorAccessorINS5_14TensorAccessorIN3c108ArrayRefIlEEKT_Lm4ENS4_16DefaultPtrTraitsElEENS_6detail16IndexBoundsCheckILm5ElEESC_Lm5ESD_lEENS6_INS7_ISA_SB_Lm4ESD_lEESH_SB_Lm5ESD_lEEiiiii: ; @_ZN2at6native12_GLOBAL__N_132replication_pad_forward_kernel3dIlEEvN5torch10headeronly6detail27GenericPackedTensorAccessorINS5_14TensorAccessorIN3c108ArrayRefIlEEKT_Lm4ENS4_16DefaultPtrTraitsElEENS_6detail16IndexBoundsCheckILm5ElEESC_Lm5ESD_lEENS6_INS7_ISA_SB_Lm4ESD_lEESH_SB_Lm5ESD_lEEiiiii
; %bb.0:
	s_load_dword s9, s[4:5], 0xd4
	s_load_dwordx4 s[0:3], s[4:5], 0x70
	s_load_dwordx2 s[10:11], s[4:5], 0x80
	s_waitcnt lgkmcnt(0)
	s_and_b32 s9, s9, 0xffff
	s_mul_i32 s6, s6, s9
	v_add_u32_e32 v0, s6, v0
	s_mul_i32 s6, s10, s3
	s_mul_hi_u32 s9, s10, s2
	s_add_i32 s9, s9, s6
	s_mul_i32 s6, s11, s2
	s_add_i32 s9, s9, s6
	s_mul_i32 s6, s10, s2
	s_mul_i32 s1, s6, s1
	s_mul_hi_u32 s12, s6, s0
	s_add_i32 s1, s12, s1
	s_mul_i32 s12, s9, s0
	v_ashrrev_i32_e32 v1, 31, v0
	s_add_i32 s1, s1, s12
	s_mul_i32 s0, s6, s0
	v_cmp_gt_i64_e32 vcc, s[0:1], v[0:1]
	s_and_saveexec_b64 s[0:1], vcc
	s_cbranch_execz .LBB43_14
; %bb.1:
	v_or_b32_e32 v3, s11, v1
	v_mov_b32_e32 v2, 0
	v_cmp_ne_u64_e32 vcc, 0, v[2:3]
	v_ashrrev_i32_e32 v8, 31, v1
                                        ; implicit-def: $vgpr4_vgpr5
	s_and_saveexec_b64 s[0:1], vcc
	s_xor_b64 s[12:13], exec, s[0:1]
	s_cbranch_execz .LBB43_3
; %bb.2:
	s_ashr_i32 s14, s11, 31
	s_add_u32 s0, s10, s14
	s_mov_b32 s15, s14
	s_addc_u32 s1, s11, s14
	s_xor_b64 s[16:17], s[0:1], s[14:15]
	v_cvt_f32_u32_e32 v2, s16
	v_cvt_f32_u32_e32 v3, s17
	s_sub_u32 s15, 0, s16
	s_subb_u32 s18, 0, s17
	v_madmk_f32 v2, v3, 0x4f800000, v2
	v_rcp_f32_e32 v2, v2
	v_mul_f32_e32 v2, 0x5f7ffffc, v2
	v_mul_f32_e32 v3, 0x2f800000, v2
	v_trunc_f32_e32 v3, v3
	v_madmk_f32 v2, v3, 0xcf800000, v2
	v_cvt_u32_f32_e32 v3, v3
	v_cvt_u32_f32_e32 v2, v2
	v_readfirstlane_b32 s19, v3
	v_readfirstlane_b32 s0, v2
	s_mul_i32 s1, s15, s19
	s_mul_hi_u32 s21, s15, s0
	s_mul_i32 s20, s18, s0
	s_add_i32 s1, s21, s1
	s_add_i32 s1, s1, s20
	s_mul_i32 s22, s15, s0
	s_mul_i32 s21, s0, s1
	s_mul_hi_u32 s23, s0, s22
	s_mul_hi_u32 s20, s0, s1
	s_add_u32 s21, s23, s21
	s_addc_u32 s20, 0, s20
	s_mul_hi_u32 s24, s19, s22
	s_mul_i32 s22, s19, s22
	s_add_u32 s21, s21, s22
	s_mul_hi_u32 s23, s19, s1
	s_addc_u32 s20, s20, s24
	s_addc_u32 s21, s23, 0
	s_mul_i32 s1, s19, s1
	s_add_u32 s1, s20, s1
	s_addc_u32 s20, 0, s21
	s_add_u32 s21, s0, s1
	s_cselect_b64 s[0:1], -1, 0
	s_cmp_lg_u64 s[0:1], 0
	s_addc_u32 s19, s19, s20
	s_mul_i32 s0, s15, s19
	s_mul_hi_u32 s1, s15, s21
	s_add_i32 s0, s1, s0
	s_mul_i32 s18, s18, s21
	s_add_i32 s0, s0, s18
	s_mul_i32 s15, s15, s21
	s_mul_hi_u32 s18, s19, s15
	s_mul_i32 s20, s19, s15
	s_mul_i32 s23, s21, s0
	s_mul_hi_u32 s15, s21, s15
	s_mul_hi_u32 s22, s21, s0
	s_add_u32 s15, s15, s23
	s_addc_u32 s22, 0, s22
	s_add_u32 s15, s15, s20
	s_mul_hi_u32 s1, s19, s0
	s_addc_u32 s15, s22, s18
	s_addc_u32 s1, s1, 0
	s_mul_i32 s0, s19, s0
	s_add_u32 s0, s15, s0
	s_addc_u32 s15, 0, s1
	s_add_u32 s18, s21, s0
	s_cselect_b64 s[0:1], -1, 0
	s_cmp_lg_u64 s[0:1], 0
	v_add_co_u32_e32 v2, vcc, v0, v8
	s_addc_u32 s15, s19, s15
	v_xor_b32_e32 v6, v2, v8
	v_mad_u64_u32 v[2:3], s[0:1], v6, s15, 0
	v_mul_hi_u32 v5, v6, s18
	v_addc_co_u32_e32 v4, vcc, v1, v8, vcc
	v_xor_b32_e32 v7, v4, v8
	v_add_co_u32_e32 v9, vcc, v5, v2
	v_addc_co_u32_e32 v10, vcc, 0, v3, vcc
	v_mad_u64_u32 v[2:3], s[0:1], v7, s18, 0
	v_mad_u64_u32 v[4:5], s[0:1], v7, s15, 0
	v_add_co_u32_e32 v2, vcc, v9, v2
	v_addc_co_u32_e32 v2, vcc, v10, v3, vcc
	v_addc_co_u32_e32 v3, vcc, 0, v5, vcc
	v_add_co_u32_e32 v4, vcc, v2, v4
	v_addc_co_u32_e32 v5, vcc, 0, v3, vcc
	v_mul_lo_u32 v9, s17, v4
	v_mul_lo_u32 v10, s16, v5
	v_mad_u64_u32 v[2:3], s[0:1], s16, v4, 0
	v_add3_u32 v3, v3, v10, v9
	v_sub_u32_e32 v9, v7, v3
	v_mov_b32_e32 v10, s17
	v_sub_co_u32_e32 v2, vcc, v6, v2
	v_subb_co_u32_e64 v6, s[0:1], v9, v10, vcc
	v_subrev_co_u32_e64 v9, s[0:1], s16, v2
	v_subbrev_co_u32_e64 v6, s[0:1], 0, v6, s[0:1]
	v_cmp_le_u32_e64 s[0:1], s17, v6
	v_cndmask_b32_e64 v10, 0, -1, s[0:1]
	v_cmp_le_u32_e64 s[0:1], s16, v9
	v_cndmask_b32_e64 v9, 0, -1, s[0:1]
	v_cmp_eq_u32_e64 s[0:1], s17, v6
	v_cndmask_b32_e64 v6, v10, v9, s[0:1]
	v_add_co_u32_e64 v9, s[0:1], 2, v4
	v_subb_co_u32_e32 v3, vcc, v7, v3, vcc
	v_addc_co_u32_e64 v10, s[0:1], 0, v5, s[0:1]
	v_cmp_le_u32_e32 vcc, s17, v3
	v_add_co_u32_e64 v11, s[0:1], 1, v4
	v_cndmask_b32_e64 v7, 0, -1, vcc
	v_cmp_le_u32_e32 vcc, s16, v2
	v_addc_co_u32_e64 v12, s[0:1], 0, v5, s[0:1]
	v_cndmask_b32_e64 v2, 0, -1, vcc
	v_cmp_eq_u32_e32 vcc, s17, v3
	v_cmp_ne_u32_e64 s[0:1], 0, v6
	v_cndmask_b32_e32 v2, v7, v2, vcc
	v_cndmask_b32_e64 v6, v12, v10, s[0:1]
	v_cmp_ne_u32_e32 vcc, 0, v2
	v_cndmask_b32_e64 v3, v11, v9, s[0:1]
	v_cndmask_b32_e32 v2, v5, v6, vcc
	v_cndmask_b32_e32 v3, v4, v3, vcc
	v_xor_b32_e32 v5, s14, v8
	v_xor_b32_e32 v3, v3, v5
	;; [unrolled: 1-line block ×3, first 2 shown]
	v_sub_co_u32_e32 v4, vcc, v3, v5
	v_subb_co_u32_e32 v5, vcc, v2, v5, vcc
.LBB43_3:
	s_andn2_saveexec_b64 s[0:1], s[12:13]
	s_cbranch_execz .LBB43_5
; %bb.4:
	v_cvt_f32_u32_e32 v2, s10
	s_sub_i32 s12, 0, s10
	v_rcp_iflag_f32_e32 v2, v2
	v_mul_f32_e32 v2, 0x4f7ffffe, v2
	v_cvt_u32_f32_e32 v2, v2
	v_mul_lo_u32 v3, s12, v2
	v_mul_hi_u32 v3, v2, v3
	v_add_u32_e32 v2, v2, v3
	v_mul_hi_u32 v2, v0, v2
	v_mul_lo_u32 v3, v2, s10
	v_add_u32_e32 v4, 1, v2
	v_sub_u32_e32 v3, v0, v3
	v_subrev_u32_e32 v5, s10, v3
	v_cmp_le_u32_e32 vcc, s10, v3
	v_cndmask_b32_e32 v3, v3, v5, vcc
	v_cndmask_b32_e32 v2, v2, v4, vcc
	v_add_u32_e32 v4, 1, v2
	v_cmp_le_u32_e32 vcc, s10, v3
	v_cndmask_b32_e32 v4, v2, v4, vcc
	v_mov_b32_e32 v5, 0
.LBB43_5:
	s_or_b64 exec, exec, s[0:1]
	v_or_b32_e32 v3, s3, v5
	v_mov_b32_e32 v2, 0
	v_cmp_ne_u64_e32 vcc, 0, v[2:3]
                                        ; implicit-def: $vgpr2_vgpr3
	s_and_saveexec_b64 s[0:1], vcc
	s_xor_b64 s[12:13], exec, s[0:1]
	s_cbranch_execz .LBB43_7
; %bb.6:
	s_ashr_i32 s0, s3, 31
	s_add_u32 s14, s2, s0
	s_mov_b32 s1, s0
	s_addc_u32 s15, s3, s0
	s_xor_b64 s[14:15], s[14:15], s[0:1]
	v_cvt_f32_u32_e32 v2, s14
	v_cvt_f32_u32_e32 v3, s15
	s_sub_u32 s3, 0, s14
	s_subb_u32 s16, 0, s15
	v_ashrrev_i32_e32 v9, 31, v5
	v_madmk_f32 v2, v3, 0x4f800000, v2
	v_rcp_f32_e32 v2, v2
	v_mul_f32_e32 v2, 0x5f7ffffc, v2
	v_mul_f32_e32 v3, 0x2f800000, v2
	v_trunc_f32_e32 v3, v3
	v_madmk_f32 v2, v3, 0xcf800000, v2
	v_cvt_u32_f32_e32 v3, v3
	v_cvt_u32_f32_e32 v2, v2
	v_readfirstlane_b32 s17, v3
	v_readfirstlane_b32 s0, v2
	s_mul_i32 s1, s3, s17
	s_mul_hi_u32 s19, s3, s0
	s_mul_i32 s18, s16, s0
	s_add_i32 s1, s19, s1
	s_add_i32 s1, s1, s18
	s_mul_i32 s20, s3, s0
	s_mul_i32 s19, s0, s1
	s_mul_hi_u32 s21, s0, s20
	s_mul_hi_u32 s18, s0, s1
	s_add_u32 s19, s21, s19
	s_addc_u32 s18, 0, s18
	s_mul_hi_u32 s22, s17, s20
	s_mul_i32 s20, s17, s20
	s_add_u32 s19, s19, s20
	s_mul_hi_u32 s21, s17, s1
	s_addc_u32 s18, s18, s22
	s_addc_u32 s19, s21, 0
	s_mul_i32 s1, s17, s1
	s_add_u32 s1, s18, s1
	s_addc_u32 s18, 0, s19
	s_add_u32 s19, s0, s1
	s_cselect_b64 s[0:1], -1, 0
	s_cmp_lg_u64 s[0:1], 0
	s_addc_u32 s17, s17, s18
	s_mul_i32 s0, s3, s17
	s_mul_hi_u32 s1, s3, s19
	s_add_i32 s0, s1, s0
	s_mul_i32 s16, s16, s19
	s_add_i32 s0, s0, s16
	s_mul_i32 s3, s3, s19
	s_mul_hi_u32 s16, s17, s3
	s_mul_i32 s18, s17, s3
	s_mul_i32 s21, s19, s0
	s_mul_hi_u32 s3, s19, s3
	s_mul_hi_u32 s20, s19, s0
	s_add_u32 s3, s3, s21
	s_addc_u32 s20, 0, s20
	s_add_u32 s3, s3, s18
	s_mul_hi_u32 s1, s17, s0
	s_addc_u32 s3, s20, s16
	s_addc_u32 s1, s1, 0
	s_mul_i32 s0, s17, s0
	s_add_u32 s0, s3, s0
	s_addc_u32 s3, 0, s1
	s_add_u32 s16, s19, s0
	s_cselect_b64 s[0:1], -1, 0
	s_cmp_lg_u64 s[0:1], 0
	v_add_co_u32_e32 v2, vcc, v4, v9
	s_addc_u32 s3, s17, s3
	v_xor_b32_e32 v10, v2, v9
	v_mad_u64_u32 v[2:3], s[0:1], v10, s3, 0
	v_mul_hi_u32 v7, v10, s16
	v_addc_co_u32_e32 v6, vcc, v5, v9, vcc
	v_xor_b32_e32 v11, v6, v9
	v_add_co_u32_e32 v12, vcc, v7, v2
	v_addc_co_u32_e32 v13, vcc, 0, v3, vcc
	v_mad_u64_u32 v[2:3], s[0:1], v11, s16, 0
	v_mad_u64_u32 v[6:7], s[0:1], v11, s3, 0
	v_add_co_u32_e32 v2, vcc, v12, v2
	v_addc_co_u32_e32 v2, vcc, v13, v3, vcc
	v_addc_co_u32_e32 v3, vcc, 0, v7, vcc
	v_add_co_u32_e32 v2, vcc, v2, v6
	v_addc_co_u32_e32 v3, vcc, 0, v3, vcc
	v_mul_lo_u32 v6, s15, v2
	v_mul_lo_u32 v7, s14, v3
	v_mad_u64_u32 v[2:3], s[0:1], s14, v2, 0
	v_add3_u32 v3, v3, v7, v6
	v_sub_u32_e32 v6, v11, v3
	v_mov_b32_e32 v7, s15
	v_sub_co_u32_e32 v2, vcc, v10, v2
	v_subb_co_u32_e64 v6, s[0:1], v6, v7, vcc
	v_subrev_co_u32_e64 v7, s[0:1], s14, v2
	v_subbrev_co_u32_e64 v6, s[0:1], 0, v6, s[0:1]
	v_cmp_le_u32_e64 s[0:1], s15, v6
	v_subb_co_u32_e32 v3, vcc, v11, v3, vcc
	v_cndmask_b32_e64 v10, 0, -1, s[0:1]
	v_cmp_le_u32_e64 s[0:1], s14, v7
	v_cmp_le_u32_e32 vcc, s15, v3
	v_cndmask_b32_e64 v12, 0, -1, s[0:1]
	v_cmp_eq_u32_e64 s[0:1], s15, v6
	v_cndmask_b32_e64 v11, 0, -1, vcc
	v_cmp_le_u32_e32 vcc, s14, v2
	v_cndmask_b32_e64 v6, v10, v12, s[0:1]
	v_cndmask_b32_e64 v12, 0, -1, vcc
	v_cmp_eq_u32_e32 vcc, s15, v3
	v_subrev_co_u32_e64 v10, s[0:1], s14, v7
	v_cndmask_b32_e32 v3, v11, v12, vcc
	v_cmp_ne_u32_e32 vcc, 0, v6
	v_cndmask_b32_e32 v6, v7, v10, vcc
	v_cmp_ne_u32_e32 vcc, 0, v3
	v_cndmask_b32_e32 v2, v2, v6, vcc
	v_xor_b32_e32 v2, v2, v9
	v_sub_co_u32_e32 v2, vcc, v2, v9
.LBB43_7:
	s_andn2_saveexec_b64 s[0:1], s[12:13]
	s_cbranch_execz .LBB43_9
; %bb.8:
	v_cvt_f32_u32_e32 v2, s2
	s_sub_i32 s3, 0, s2
	v_rcp_iflag_f32_e32 v2, v2
	v_mul_f32_e32 v2, 0x4f7ffffe, v2
	v_cvt_u32_f32_e32 v2, v2
	v_mul_lo_u32 v3, s3, v2
	v_mul_hi_u32 v3, v2, v3
	v_add_u32_e32 v2, v2, v3
	v_mul_hi_u32 v2, v4, v2
	v_mul_lo_u32 v2, v2, s2
	v_sub_u32_e32 v2, v4, v2
	v_subrev_u32_e32 v3, s2, v2
	v_cmp_le_u32_e32 vcc, s2, v2
	v_cndmask_b32_e32 v2, v2, v3, vcc
	v_subrev_u32_e32 v3, s2, v2
	v_cmp_le_u32_e32 vcc, s2, v2
	v_cndmask_b32_e32 v2, v2, v3, vcc
.LBB43_9:
	s_or_b64 exec, exec, s[0:1]
	v_or_b32_e32 v7, s9, v1
	v_mov_b32_e32 v6, 0
	v_cmp_ne_u64_e32 vcc, 0, v[6:7]
                                        ; implicit-def: $vgpr6_vgpr7
	s_and_saveexec_b64 s[0:1], vcc
	s_xor_b64 s[2:3], exec, s[0:1]
	s_cbranch_execz .LBB43_11
; %bb.10:
	s_ashr_i32 s12, s9, 31
	s_add_u32 s0, s6, s12
	s_mov_b32 s13, s12
	s_addc_u32 s1, s9, s12
	s_xor_b64 s[14:15], s[0:1], s[12:13]
	v_cvt_f32_u32_e32 v3, s14
	v_cvt_f32_u32_e32 v6, s15
	s_sub_u32 s9, 0, s14
	s_subb_u32 s13, 0, s15
	v_madmk_f32 v3, v6, 0x4f800000, v3
	v_rcp_f32_e32 v3, v3
	v_mul_f32_e32 v3, 0x5f7ffffc, v3
	v_mul_f32_e32 v6, 0x2f800000, v3
	v_trunc_f32_e32 v6, v6
	v_madmk_f32 v3, v6, 0xcf800000, v3
	v_cvt_u32_f32_e32 v6, v6
	v_cvt_u32_f32_e32 v3, v3
	v_readfirstlane_b32 s16, v6
	v_readfirstlane_b32 s0, v3
	s_mul_i32 s1, s9, s16
	s_mul_hi_u32 s18, s9, s0
	s_mul_i32 s17, s13, s0
	s_add_i32 s1, s18, s1
	s_add_i32 s1, s1, s17
	s_mul_i32 s19, s9, s0
	s_mul_i32 s18, s0, s1
	s_mul_hi_u32 s20, s0, s19
	s_mul_hi_u32 s17, s0, s1
	s_add_u32 s18, s20, s18
	s_addc_u32 s17, 0, s17
	s_mul_hi_u32 s21, s16, s19
	s_mul_i32 s19, s16, s19
	s_add_u32 s18, s18, s19
	s_mul_hi_u32 s20, s16, s1
	s_addc_u32 s17, s17, s21
	s_addc_u32 s18, s20, 0
	s_mul_i32 s1, s16, s1
	s_add_u32 s1, s17, s1
	s_addc_u32 s17, 0, s18
	s_add_u32 s18, s0, s1
	s_cselect_b64 s[0:1], -1, 0
	s_cmp_lg_u64 s[0:1], 0
	s_addc_u32 s16, s16, s17
	s_mul_i32 s0, s9, s16
	s_mul_hi_u32 s1, s9, s18
	s_add_i32 s0, s1, s0
	s_mul_i32 s13, s13, s18
	s_add_i32 s0, s0, s13
	s_mul_i32 s9, s9, s18
	s_mul_hi_u32 s13, s16, s9
	s_mul_i32 s17, s16, s9
	s_mul_i32 s20, s18, s0
	s_mul_hi_u32 s9, s18, s9
	s_mul_hi_u32 s19, s18, s0
	s_add_u32 s9, s9, s20
	s_addc_u32 s19, 0, s19
	s_add_u32 s9, s9, s17
	s_mul_hi_u32 s1, s16, s0
	s_addc_u32 s9, s19, s13
	s_addc_u32 s1, s1, 0
	s_mul_i32 s0, s16, s0
	s_add_u32 s0, s9, s0
	s_addc_u32 s9, 0, s1
	s_add_u32 s13, s18, s0
	s_cselect_b64 s[0:1], -1, 0
	s_cmp_lg_u64 s[0:1], 0
	v_add_co_u32_e32 v3, vcc, v0, v8
	s_addc_u32 s9, s16, s9
	v_xor_b32_e32 v3, v3, v8
	v_mad_u64_u32 v[6:7], s[0:1], v3, s9, 0
	v_mul_hi_u32 v10, v3, s13
	v_addc_co_u32_e32 v9, vcc, v1, v8, vcc
	v_xor_b32_e32 v11, v9, v8
	v_add_co_u32_e32 v12, vcc, v10, v6
	v_addc_co_u32_e32 v13, vcc, 0, v7, vcc
	v_mad_u64_u32 v[6:7], s[0:1], v11, s13, 0
	v_mad_u64_u32 v[9:10], s[0:1], v11, s9, 0
	v_add_co_u32_e32 v6, vcc, v12, v6
	v_addc_co_u32_e32 v6, vcc, v13, v7, vcc
	v_addc_co_u32_e32 v7, vcc, 0, v10, vcc
	v_add_co_u32_e32 v9, vcc, v6, v9
	v_addc_co_u32_e32 v6, vcc, 0, v7, vcc
	v_mul_lo_u32 v10, s15, v9
	v_mul_lo_u32 v12, s14, v6
	v_mad_u64_u32 v[6:7], s[0:1], s14, v9, 0
	v_add3_u32 v7, v7, v12, v10
	v_sub_u32_e32 v10, v11, v7
	v_mov_b32_e32 v12, s15
	v_sub_co_u32_e32 v3, vcc, v3, v6
	v_subb_co_u32_e64 v6, s[0:1], v10, v12, vcc
	v_subrev_co_u32_e64 v10, s[0:1], s14, v3
	v_subbrev_co_u32_e64 v6, s[0:1], 0, v6, s[0:1]
	v_cmp_le_u32_e64 s[0:1], s15, v6
	v_subb_co_u32_e32 v7, vcc, v11, v7, vcc
	v_cndmask_b32_e64 v12, 0, -1, s[0:1]
	v_cmp_le_u32_e64 s[0:1], s14, v10
	v_cmp_le_u32_e32 vcc, s15, v7
	v_cndmask_b32_e64 v10, 0, -1, s[0:1]
	v_cmp_eq_u32_e64 s[0:1], s15, v6
	v_cndmask_b32_e64 v11, 0, -1, vcc
	v_cmp_le_u32_e32 vcc, s14, v3
	v_cndmask_b32_e64 v6, v12, v10, s[0:1]
	v_cndmask_b32_e64 v3, 0, -1, vcc
	v_cmp_eq_u32_e32 vcc, s15, v7
	v_add_co_u32_e64 v10, s[0:1], 2, v9
	v_add_co_u32_e64 v12, s[0:1], 1, v9
	v_cndmask_b32_e32 v3, v11, v3, vcc
	v_cmp_ne_u32_e32 vcc, 0, v6
	v_cndmask_b32_e32 v6, v12, v10, vcc
	v_cmp_ne_u32_e32 vcc, 0, v3
	v_cndmask_b32_e32 v3, v9, v6, vcc
	v_xor_b32_e32 v6, s12, v8
	v_xor_b32_e32 v3, v3, v6
	v_sub_co_u32_e32 v6, vcc, v3, v6
.LBB43_11:
	s_andn2_saveexec_b64 s[0:1], s[2:3]
	s_cbranch_execz .LBB43_13
; %bb.12:
	v_cvt_f32_u32_e32 v3, s6
	s_sub_i32 s2, 0, s6
	v_rcp_iflag_f32_e32 v3, v3
	v_mul_f32_e32 v3, 0x4f7ffffe, v3
	v_cvt_u32_f32_e32 v3, v3
	v_mul_lo_u32 v6, s2, v3
	v_mul_hi_u32 v6, v3, v6
	v_add_u32_e32 v3, v3, v6
	v_mul_hi_u32 v3, v0, v3
	v_mul_lo_u32 v6, v3, s6
	v_add_u32_e32 v7, 1, v3
	v_sub_u32_e32 v6, v0, v6
	v_subrev_u32_e32 v8, s6, v6
	v_cmp_le_u32_e32 vcc, s6, v6
	v_cndmask_b32_e32 v6, v6, v8, vcc
	v_cndmask_b32_e32 v3, v3, v7, vcc
	v_add_u32_e32 v7, 1, v3
	v_cmp_le_u32_e32 vcc, s6, v6
	v_cndmask_b32_e32 v6, v3, v7, vcc
.LBB43_13:
	s_or_b64 exec, exec, s[0:1]
	v_mul_lo_u32 v7, v4, s11
	v_mad_u64_u32 v[3:4], s[0:1], v4, s10, 0
	s_load_dwordx4 s[0:3], s[4:5], 0xb0
	s_load_dword s6, s[4:5], 0xc0
	v_mul_lo_u32 v5, v5, s10
	v_sub_co_u32_e32 v0, vcc, v0, v3
	s_waitcnt lgkmcnt(0)
	s_add_i32 s27, s3, s7
	s_add_i32 s26, s6, s8
	s_load_dwordx16 s[8:23], s[4:5], 0x18
	s_sub_i32 s3, 0, s2
	s_max_i32 s30, s2, 0
	v_max_i32_e32 v3, s2, v0
	s_max_i32 s3, s3, 0
	s_waitcnt lgkmcnt(0)
	s_add_i32 s2, s2, s12
	s_add_i32 s2, s2, -1
	v_min_i32_e32 v3, s2, v3
	s_sub_i32 s2, s3, s30
	v_add3_u32 v4, v4, v7, v5
	s_sub_i32 s6, 0, s1
	s_max_i32 s9, s1, 0
	v_add_u32_e32 v5, s2, v3
	v_max_i32_e32 v3, s1, v2
	s_add_i32 s1, s1, s10
	s_max_i32 s28, s6, 0
	s_add_i32 s1, s1, -1
	v_min_i32_e32 v3, s1, v3
	s_sub_i32 s1, s28, s9
	s_sub_i32 s6, 0, s0
	s_max_i32 s11, s0, 0
	v_add_u32_e32 v7, s1, v3
	v_max_i32_e32 v3, s0, v6
	s_add_i32 s0, s0, s8
	s_max_i32 s29, s6, 0
	s_add_i32 s0, s0, -1
	s_load_dwordx2 s[6:7], s[4:5], 0x0
	v_min_i32_e32 v3, s0, v3
	s_sub_i32 s0, s29, s11
	s_ashr_i32 s28, s26, 31
	v_add_u32_e32 v3, s0, v3
	s_mul_i32 s0, s14, s28
	s_mul_hi_u32 s1, s14, s26
	s_add_i32 s0, s1, s0
	s_mul_i32 s1, s15, s26
	s_add_i32 s1, s0, s1
	s_mul_i32 s0, s14, s26
	s_lshl_b64 s[0:1], s[0:1], 3
	s_waitcnt lgkmcnt(0)
	s_add_u32 s6, s6, s0
	s_addc_u32 s7, s7, s1
	s_ashr_i32 s29, s27, 31
	v_subb_co_u32_e32 v1, vcc, v1, v4, vcc
	s_mul_i32 s0, s16, s29
	s_mul_hi_u32 s1, s16, s27
	v_ashrrev_i32_e32 v4, 31, v3
	s_add_i32 s0, s1, s0
	s_mul_i32 s1, s17, s27
	v_mul_lo_u32 v8, s18, v4
	v_mul_lo_u32 v9, s19, v3
	v_mad_u64_u32 v[3:4], s[2:3], s18, v3, 0
	s_add_i32 s1, s0, s1
	s_mul_i32 s0, s16, s27
	s_lshl_b64 s[0:1], s[0:1], 3
	s_add_u32 s2, s6, s0
	s_addc_u32 s0, s7, s1
	v_add3_u32 v4, v4, v8, v9
	v_ashrrev_i32_e32 v8, 31, v7
	v_mov_b32_e32 v9, s0
	v_mul_lo_u32 v10, s20, v8
	v_mul_lo_u32 v11, s21, v7
	v_mad_u64_u32 v[7:8], s[0:1], s20, v7, 0
	v_lshlrev_b64 v[3:4], 3, v[3:4]
	s_load_dwordx2 s[24:25], s[4:5], 0xa8
	v_add_co_u32_e32 v12, vcc, s2, v3
	v_add3_u32 v8, v8, v10, v11
	v_addc_co_u32_e32 v9, vcc, v9, v4, vcc
	v_lshlrev_b64 v[3:4], 3, v[7:8]
	v_ashrrev_i32_e32 v7, 31, v5
	v_mul_lo_u32 v10, s22, v7
	v_mul_lo_u32 v11, s23, v5
	v_mad_u64_u32 v[7:8], s[0:1], s22, v5, 0
	v_add_co_u32_e32 v5, vcc, v12, v3
	v_add3_u32 v8, v8, v10, v11
	v_addc_co_u32_e32 v9, vcc, v9, v4, vcc
	v_lshlrev_b64 v[3:4], 3, v[7:8]
	v_add_co_u32_e32 v3, vcc, v5, v3
	v_addc_co_u32_e32 v4, vcc, v9, v4, vcc
	global_load_dwordx2 v[3:4], v[3:4], off
	s_load_dwordx8 s[8:15], s[4:5], 0x88
	s_load_dwordx2 s[0:1], s[4:5], 0x58
	v_ashrrev_i32_e32 v5, 31, v6
	s_waitcnt lgkmcnt(0)
	s_mul_i32 s2, s8, s28
	s_mul_hi_u32 s3, s8, s26
	s_add_i32 s2, s3, s2
	s_mul_i32 s3, s9, s26
	s_add_i32 s3, s2, s3
	s_mul_i32 s2, s8, s26
	s_lshl_b64 s[2:3], s[2:3], 3
	s_add_u32 s4, s0, s2
	s_addc_u32 s5, s1, s3
	s_mul_i32 s0, s10, s29
	s_mul_hi_u32 s1, s10, s27
	s_add_i32 s0, s1, s0
	s_mul_i32 s1, s11, s27
	v_mul_lo_u32 v7, s13, v6
	v_mul_lo_u32 v8, s12, v5
	v_mad_u64_u32 v[5:6], s[2:3], s12, v6, 0
	s_add_i32 s1, s0, s1
	s_mul_i32 s0, s10, s27
	s_lshl_b64 s[0:1], s[0:1], 3
	s_add_u32 s2, s4, s0
	s_addc_u32 s0, s5, s1
	v_add3_u32 v6, v6, v8, v7
	v_ashrrev_i32_e32 v7, 31, v2
	v_mov_b32_e32 v9, s0
	v_mul_lo_u32 v10, s15, v2
	v_mul_lo_u32 v11, s14, v7
	v_mad_u64_u32 v[7:8], s[0:1], s14, v2, 0
	v_lshlrev_b64 v[5:6], 3, v[5:6]
	v_add_co_u32_e32 v2, vcc, s2, v5
	v_add3_u32 v8, v8, v11, v10
	v_addc_co_u32_e32 v9, vcc, v9, v6, vcc
	v_lshlrev_b64 v[5:6], 3, v[7:8]
	v_mul_lo_u32 v7, s25, v0
	v_mul_lo_u32 v8, s24, v1
	v_mad_u64_u32 v[0:1], s[0:1], s24, v0, 0
	v_add_co_u32_e32 v2, vcc, v2, v5
	v_add3_u32 v1, v1, v8, v7
	v_lshlrev_b64 v[0:1], 3, v[0:1]
	v_addc_co_u32_e32 v5, vcc, v9, v6, vcc
	v_add_co_u32_e32 v0, vcc, v2, v0
	v_addc_co_u32_e32 v1, vcc, v5, v1, vcc
	s_waitcnt vmcnt(0)
	global_store_dwordx2 v[0:1], v[3:4], off
.LBB43_14:
	s_endpgm
	.section	.rodata,"a",@progbits
	.p2align	6, 0x0
	.amdhsa_kernel _ZN2at6native12_GLOBAL__N_132replication_pad_forward_kernel3dIlEEvN5torch10headeronly6detail27GenericPackedTensorAccessorINS5_14TensorAccessorIN3c108ArrayRefIlEEKT_Lm4ENS4_16DefaultPtrTraitsElEENS_6detail16IndexBoundsCheckILm5ElEESC_Lm5ESD_lEENS6_INS7_ISA_SB_Lm4ESD_lEESH_SB_Lm5ESD_lEEiiiii
		.amdhsa_group_segment_fixed_size 0
		.amdhsa_private_segment_fixed_size 0
		.amdhsa_kernarg_size 456
		.amdhsa_user_sgpr_count 6
		.amdhsa_user_sgpr_private_segment_buffer 1
		.amdhsa_user_sgpr_dispatch_ptr 0
		.amdhsa_user_sgpr_queue_ptr 0
		.amdhsa_user_sgpr_kernarg_segment_ptr 1
		.amdhsa_user_sgpr_dispatch_id 0
		.amdhsa_user_sgpr_flat_scratch_init 0
		.amdhsa_user_sgpr_private_segment_size 0
		.amdhsa_uses_dynamic_stack 0
		.amdhsa_system_sgpr_private_segment_wavefront_offset 0
		.amdhsa_system_sgpr_workgroup_id_x 1
		.amdhsa_system_sgpr_workgroup_id_y 1
		.amdhsa_system_sgpr_workgroup_id_z 1
		.amdhsa_system_sgpr_workgroup_info 0
		.amdhsa_system_vgpr_workitem_id 0
		.amdhsa_next_free_vgpr 14
		.amdhsa_next_free_sgpr 31
		.amdhsa_reserve_vcc 1
		.amdhsa_reserve_flat_scratch 0
		.amdhsa_float_round_mode_32 0
		.amdhsa_float_round_mode_16_64 0
		.amdhsa_float_denorm_mode_32 3
		.amdhsa_float_denorm_mode_16_64 3
		.amdhsa_dx10_clamp 1
		.amdhsa_ieee_mode 1
		.amdhsa_fp16_overflow 0
		.amdhsa_exception_fp_ieee_invalid_op 0
		.amdhsa_exception_fp_denorm_src 0
		.amdhsa_exception_fp_ieee_div_zero 0
		.amdhsa_exception_fp_ieee_overflow 0
		.amdhsa_exception_fp_ieee_underflow 0
		.amdhsa_exception_fp_ieee_inexact 0
		.amdhsa_exception_int_div_zero 0
	.end_amdhsa_kernel
	.section	.text._ZN2at6native12_GLOBAL__N_132replication_pad_forward_kernel3dIlEEvN5torch10headeronly6detail27GenericPackedTensorAccessorINS5_14TensorAccessorIN3c108ArrayRefIlEEKT_Lm4ENS4_16DefaultPtrTraitsElEENS_6detail16IndexBoundsCheckILm5ElEESC_Lm5ESD_lEENS6_INS7_ISA_SB_Lm4ESD_lEESH_SB_Lm5ESD_lEEiiiii,"axG",@progbits,_ZN2at6native12_GLOBAL__N_132replication_pad_forward_kernel3dIlEEvN5torch10headeronly6detail27GenericPackedTensorAccessorINS5_14TensorAccessorIN3c108ArrayRefIlEEKT_Lm4ENS4_16DefaultPtrTraitsElEENS_6detail16IndexBoundsCheckILm5ElEESC_Lm5ESD_lEENS6_INS7_ISA_SB_Lm4ESD_lEESH_SB_Lm5ESD_lEEiiiii,comdat
.Lfunc_end43:
	.size	_ZN2at6native12_GLOBAL__N_132replication_pad_forward_kernel3dIlEEvN5torch10headeronly6detail27GenericPackedTensorAccessorINS5_14TensorAccessorIN3c108ArrayRefIlEEKT_Lm4ENS4_16DefaultPtrTraitsElEENS_6detail16IndexBoundsCheckILm5ElEESC_Lm5ESD_lEENS6_INS7_ISA_SB_Lm4ESD_lEESH_SB_Lm5ESD_lEEiiiii, .Lfunc_end43-_ZN2at6native12_GLOBAL__N_132replication_pad_forward_kernel3dIlEEvN5torch10headeronly6detail27GenericPackedTensorAccessorINS5_14TensorAccessorIN3c108ArrayRefIlEEKT_Lm4ENS4_16DefaultPtrTraitsElEENS_6detail16IndexBoundsCheckILm5ElEESC_Lm5ESD_lEENS6_INS7_ISA_SB_Lm4ESD_lEESH_SB_Lm5ESD_lEEiiiii
                                        ; -- End function
	.set _ZN2at6native12_GLOBAL__N_132replication_pad_forward_kernel3dIlEEvN5torch10headeronly6detail27GenericPackedTensorAccessorINS5_14TensorAccessorIN3c108ArrayRefIlEEKT_Lm4ENS4_16DefaultPtrTraitsElEENS_6detail16IndexBoundsCheckILm5ElEESC_Lm5ESD_lEENS6_INS7_ISA_SB_Lm4ESD_lEESH_SB_Lm5ESD_lEEiiiii.num_vgpr, 14
	.set _ZN2at6native12_GLOBAL__N_132replication_pad_forward_kernel3dIlEEvN5torch10headeronly6detail27GenericPackedTensorAccessorINS5_14TensorAccessorIN3c108ArrayRefIlEEKT_Lm4ENS4_16DefaultPtrTraitsElEENS_6detail16IndexBoundsCheckILm5ElEESC_Lm5ESD_lEENS6_INS7_ISA_SB_Lm4ESD_lEESH_SB_Lm5ESD_lEEiiiii.num_agpr, 0
	.set _ZN2at6native12_GLOBAL__N_132replication_pad_forward_kernel3dIlEEvN5torch10headeronly6detail27GenericPackedTensorAccessorINS5_14TensorAccessorIN3c108ArrayRefIlEEKT_Lm4ENS4_16DefaultPtrTraitsElEENS_6detail16IndexBoundsCheckILm5ElEESC_Lm5ESD_lEENS6_INS7_ISA_SB_Lm4ESD_lEESH_SB_Lm5ESD_lEEiiiii.numbered_sgpr, 31
	.set _ZN2at6native12_GLOBAL__N_132replication_pad_forward_kernel3dIlEEvN5torch10headeronly6detail27GenericPackedTensorAccessorINS5_14TensorAccessorIN3c108ArrayRefIlEEKT_Lm4ENS4_16DefaultPtrTraitsElEENS_6detail16IndexBoundsCheckILm5ElEESC_Lm5ESD_lEENS6_INS7_ISA_SB_Lm4ESD_lEESH_SB_Lm5ESD_lEEiiiii.num_named_barrier, 0
	.set _ZN2at6native12_GLOBAL__N_132replication_pad_forward_kernel3dIlEEvN5torch10headeronly6detail27GenericPackedTensorAccessorINS5_14TensorAccessorIN3c108ArrayRefIlEEKT_Lm4ENS4_16DefaultPtrTraitsElEENS_6detail16IndexBoundsCheckILm5ElEESC_Lm5ESD_lEENS6_INS7_ISA_SB_Lm4ESD_lEESH_SB_Lm5ESD_lEEiiiii.private_seg_size, 0
	.set _ZN2at6native12_GLOBAL__N_132replication_pad_forward_kernel3dIlEEvN5torch10headeronly6detail27GenericPackedTensorAccessorINS5_14TensorAccessorIN3c108ArrayRefIlEEKT_Lm4ENS4_16DefaultPtrTraitsElEENS_6detail16IndexBoundsCheckILm5ElEESC_Lm5ESD_lEENS6_INS7_ISA_SB_Lm4ESD_lEESH_SB_Lm5ESD_lEEiiiii.uses_vcc, 1
	.set _ZN2at6native12_GLOBAL__N_132replication_pad_forward_kernel3dIlEEvN5torch10headeronly6detail27GenericPackedTensorAccessorINS5_14TensorAccessorIN3c108ArrayRefIlEEKT_Lm4ENS4_16DefaultPtrTraitsElEENS_6detail16IndexBoundsCheckILm5ElEESC_Lm5ESD_lEENS6_INS7_ISA_SB_Lm4ESD_lEESH_SB_Lm5ESD_lEEiiiii.uses_flat_scratch, 0
	.set _ZN2at6native12_GLOBAL__N_132replication_pad_forward_kernel3dIlEEvN5torch10headeronly6detail27GenericPackedTensorAccessorINS5_14TensorAccessorIN3c108ArrayRefIlEEKT_Lm4ENS4_16DefaultPtrTraitsElEENS_6detail16IndexBoundsCheckILm5ElEESC_Lm5ESD_lEENS6_INS7_ISA_SB_Lm4ESD_lEESH_SB_Lm5ESD_lEEiiiii.has_dyn_sized_stack, 0
	.set _ZN2at6native12_GLOBAL__N_132replication_pad_forward_kernel3dIlEEvN5torch10headeronly6detail27GenericPackedTensorAccessorINS5_14TensorAccessorIN3c108ArrayRefIlEEKT_Lm4ENS4_16DefaultPtrTraitsElEENS_6detail16IndexBoundsCheckILm5ElEESC_Lm5ESD_lEENS6_INS7_ISA_SB_Lm4ESD_lEESH_SB_Lm5ESD_lEEiiiii.has_recursion, 0
	.set _ZN2at6native12_GLOBAL__N_132replication_pad_forward_kernel3dIlEEvN5torch10headeronly6detail27GenericPackedTensorAccessorINS5_14TensorAccessorIN3c108ArrayRefIlEEKT_Lm4ENS4_16DefaultPtrTraitsElEENS_6detail16IndexBoundsCheckILm5ElEESC_Lm5ESD_lEENS6_INS7_ISA_SB_Lm4ESD_lEESH_SB_Lm5ESD_lEEiiiii.has_indirect_call, 0
	.section	.AMDGPU.csdata,"",@progbits
; Kernel info:
; codeLenInByte = 2952
; TotalNumSgprs: 35
; NumVgprs: 14
; ScratchSize: 0
; MemoryBound: 0
; FloatMode: 240
; IeeeMode: 1
; LDSByteSize: 0 bytes/workgroup (compile time only)
; SGPRBlocks: 4
; VGPRBlocks: 3
; NumSGPRsForWavesPerEU: 35
; NumVGPRsForWavesPerEU: 14
; Occupancy: 10
; WaveLimiterHint : 1
; COMPUTE_PGM_RSRC2:SCRATCH_EN: 0
; COMPUTE_PGM_RSRC2:USER_SGPR: 6
; COMPUTE_PGM_RSRC2:TRAP_HANDLER: 0
; COMPUTE_PGM_RSRC2:TGID_X_EN: 1
; COMPUTE_PGM_RSRC2:TGID_Y_EN: 1
; COMPUTE_PGM_RSRC2:TGID_Z_EN: 1
; COMPUTE_PGM_RSRC2:TIDIG_COMP_CNT: 0
	.section	.text._ZN2at6native12_GLOBAL__N_132replication_pad_forward_kernel3dIsEEvN5torch10headeronly6detail27GenericPackedTensorAccessorINS5_14TensorAccessorIN3c108ArrayRefIlEEKT_Lm4ENS4_16DefaultPtrTraitsElEENS_6detail16IndexBoundsCheckILm5ElEESC_Lm5ESD_lEENS6_INS7_ISA_SB_Lm4ESD_lEESH_SB_Lm5ESD_lEEiiiii,"axG",@progbits,_ZN2at6native12_GLOBAL__N_132replication_pad_forward_kernel3dIsEEvN5torch10headeronly6detail27GenericPackedTensorAccessorINS5_14TensorAccessorIN3c108ArrayRefIlEEKT_Lm4ENS4_16DefaultPtrTraitsElEENS_6detail16IndexBoundsCheckILm5ElEESC_Lm5ESD_lEENS6_INS7_ISA_SB_Lm4ESD_lEESH_SB_Lm5ESD_lEEiiiii,comdat
	.globl	_ZN2at6native12_GLOBAL__N_132replication_pad_forward_kernel3dIsEEvN5torch10headeronly6detail27GenericPackedTensorAccessorINS5_14TensorAccessorIN3c108ArrayRefIlEEKT_Lm4ENS4_16DefaultPtrTraitsElEENS_6detail16IndexBoundsCheckILm5ElEESC_Lm5ESD_lEENS6_INS7_ISA_SB_Lm4ESD_lEESH_SB_Lm5ESD_lEEiiiii ; -- Begin function _ZN2at6native12_GLOBAL__N_132replication_pad_forward_kernel3dIsEEvN5torch10headeronly6detail27GenericPackedTensorAccessorINS5_14TensorAccessorIN3c108ArrayRefIlEEKT_Lm4ENS4_16DefaultPtrTraitsElEENS_6detail16IndexBoundsCheckILm5ElEESC_Lm5ESD_lEENS6_INS7_ISA_SB_Lm4ESD_lEESH_SB_Lm5ESD_lEEiiiii
	.p2align	8
	.type	_ZN2at6native12_GLOBAL__N_132replication_pad_forward_kernel3dIsEEvN5torch10headeronly6detail27GenericPackedTensorAccessorINS5_14TensorAccessorIN3c108ArrayRefIlEEKT_Lm4ENS4_16DefaultPtrTraitsElEENS_6detail16IndexBoundsCheckILm5ElEESC_Lm5ESD_lEENS6_INS7_ISA_SB_Lm4ESD_lEESH_SB_Lm5ESD_lEEiiiii,@function
_ZN2at6native12_GLOBAL__N_132replication_pad_forward_kernel3dIsEEvN5torch10headeronly6detail27GenericPackedTensorAccessorINS5_14TensorAccessorIN3c108ArrayRefIlEEKT_Lm4ENS4_16DefaultPtrTraitsElEENS_6detail16IndexBoundsCheckILm5ElEESC_Lm5ESD_lEENS6_INS7_ISA_SB_Lm4ESD_lEESH_SB_Lm5ESD_lEEiiiii: ; @_ZN2at6native12_GLOBAL__N_132replication_pad_forward_kernel3dIsEEvN5torch10headeronly6detail27GenericPackedTensorAccessorINS5_14TensorAccessorIN3c108ArrayRefIlEEKT_Lm4ENS4_16DefaultPtrTraitsElEENS_6detail16IndexBoundsCheckILm5ElEESC_Lm5ESD_lEENS6_INS7_ISA_SB_Lm4ESD_lEESH_SB_Lm5ESD_lEEiiiii
; %bb.0:
	s_load_dword s9, s[4:5], 0xd4
	s_load_dwordx4 s[0:3], s[4:5], 0x70
	s_load_dwordx2 s[10:11], s[4:5], 0x80
	s_waitcnt lgkmcnt(0)
	s_and_b32 s9, s9, 0xffff
	s_mul_i32 s6, s6, s9
	v_add_u32_e32 v0, s6, v0
	s_mul_i32 s6, s10, s3
	s_mul_hi_u32 s9, s10, s2
	s_add_i32 s9, s9, s6
	s_mul_i32 s6, s11, s2
	s_add_i32 s9, s9, s6
	s_mul_i32 s6, s10, s2
	s_mul_i32 s1, s6, s1
	s_mul_hi_u32 s12, s6, s0
	s_add_i32 s1, s12, s1
	s_mul_i32 s12, s9, s0
	v_ashrrev_i32_e32 v1, 31, v0
	s_add_i32 s1, s1, s12
	s_mul_i32 s0, s6, s0
	v_cmp_gt_i64_e32 vcc, s[0:1], v[0:1]
	s_and_saveexec_b64 s[0:1], vcc
	s_cbranch_execz .LBB44_14
; %bb.1:
	v_or_b32_e32 v3, s11, v1
	v_mov_b32_e32 v2, 0
	v_cmp_ne_u64_e32 vcc, 0, v[2:3]
	v_ashrrev_i32_e32 v8, 31, v1
                                        ; implicit-def: $vgpr4_vgpr5
	s_and_saveexec_b64 s[0:1], vcc
	s_xor_b64 s[12:13], exec, s[0:1]
	s_cbranch_execz .LBB44_3
; %bb.2:
	s_ashr_i32 s14, s11, 31
	s_add_u32 s0, s10, s14
	s_mov_b32 s15, s14
	s_addc_u32 s1, s11, s14
	s_xor_b64 s[16:17], s[0:1], s[14:15]
	v_cvt_f32_u32_e32 v2, s16
	v_cvt_f32_u32_e32 v3, s17
	s_sub_u32 s15, 0, s16
	s_subb_u32 s18, 0, s17
	v_madmk_f32 v2, v3, 0x4f800000, v2
	v_rcp_f32_e32 v2, v2
	v_mul_f32_e32 v2, 0x5f7ffffc, v2
	v_mul_f32_e32 v3, 0x2f800000, v2
	v_trunc_f32_e32 v3, v3
	v_madmk_f32 v2, v3, 0xcf800000, v2
	v_cvt_u32_f32_e32 v3, v3
	v_cvt_u32_f32_e32 v2, v2
	v_readfirstlane_b32 s19, v3
	v_readfirstlane_b32 s0, v2
	s_mul_i32 s1, s15, s19
	s_mul_hi_u32 s21, s15, s0
	s_mul_i32 s20, s18, s0
	s_add_i32 s1, s21, s1
	s_add_i32 s1, s1, s20
	s_mul_i32 s22, s15, s0
	s_mul_i32 s21, s0, s1
	s_mul_hi_u32 s23, s0, s22
	s_mul_hi_u32 s20, s0, s1
	s_add_u32 s21, s23, s21
	s_addc_u32 s20, 0, s20
	s_mul_hi_u32 s24, s19, s22
	s_mul_i32 s22, s19, s22
	s_add_u32 s21, s21, s22
	s_mul_hi_u32 s23, s19, s1
	s_addc_u32 s20, s20, s24
	s_addc_u32 s21, s23, 0
	s_mul_i32 s1, s19, s1
	s_add_u32 s1, s20, s1
	s_addc_u32 s20, 0, s21
	s_add_u32 s21, s0, s1
	s_cselect_b64 s[0:1], -1, 0
	s_cmp_lg_u64 s[0:1], 0
	s_addc_u32 s19, s19, s20
	s_mul_i32 s0, s15, s19
	s_mul_hi_u32 s1, s15, s21
	s_add_i32 s0, s1, s0
	s_mul_i32 s18, s18, s21
	s_add_i32 s0, s0, s18
	s_mul_i32 s15, s15, s21
	s_mul_hi_u32 s18, s19, s15
	s_mul_i32 s20, s19, s15
	s_mul_i32 s23, s21, s0
	s_mul_hi_u32 s15, s21, s15
	s_mul_hi_u32 s22, s21, s0
	s_add_u32 s15, s15, s23
	s_addc_u32 s22, 0, s22
	s_add_u32 s15, s15, s20
	s_mul_hi_u32 s1, s19, s0
	s_addc_u32 s15, s22, s18
	s_addc_u32 s1, s1, 0
	s_mul_i32 s0, s19, s0
	s_add_u32 s0, s15, s0
	s_addc_u32 s15, 0, s1
	s_add_u32 s18, s21, s0
	s_cselect_b64 s[0:1], -1, 0
	s_cmp_lg_u64 s[0:1], 0
	v_add_co_u32_e32 v2, vcc, v0, v8
	s_addc_u32 s15, s19, s15
	v_xor_b32_e32 v6, v2, v8
	v_mad_u64_u32 v[2:3], s[0:1], v6, s15, 0
	v_mul_hi_u32 v5, v6, s18
	v_addc_co_u32_e32 v4, vcc, v1, v8, vcc
	v_xor_b32_e32 v7, v4, v8
	v_add_co_u32_e32 v9, vcc, v5, v2
	v_addc_co_u32_e32 v10, vcc, 0, v3, vcc
	v_mad_u64_u32 v[2:3], s[0:1], v7, s18, 0
	v_mad_u64_u32 v[4:5], s[0:1], v7, s15, 0
	v_add_co_u32_e32 v2, vcc, v9, v2
	v_addc_co_u32_e32 v2, vcc, v10, v3, vcc
	v_addc_co_u32_e32 v3, vcc, 0, v5, vcc
	v_add_co_u32_e32 v4, vcc, v2, v4
	v_addc_co_u32_e32 v5, vcc, 0, v3, vcc
	v_mul_lo_u32 v9, s17, v4
	v_mul_lo_u32 v10, s16, v5
	v_mad_u64_u32 v[2:3], s[0:1], s16, v4, 0
	v_add3_u32 v3, v3, v10, v9
	v_sub_u32_e32 v9, v7, v3
	v_mov_b32_e32 v10, s17
	v_sub_co_u32_e32 v2, vcc, v6, v2
	v_subb_co_u32_e64 v6, s[0:1], v9, v10, vcc
	v_subrev_co_u32_e64 v9, s[0:1], s16, v2
	v_subbrev_co_u32_e64 v6, s[0:1], 0, v6, s[0:1]
	v_cmp_le_u32_e64 s[0:1], s17, v6
	v_cndmask_b32_e64 v10, 0, -1, s[0:1]
	v_cmp_le_u32_e64 s[0:1], s16, v9
	v_cndmask_b32_e64 v9, 0, -1, s[0:1]
	v_cmp_eq_u32_e64 s[0:1], s17, v6
	v_cndmask_b32_e64 v6, v10, v9, s[0:1]
	v_add_co_u32_e64 v9, s[0:1], 2, v4
	v_subb_co_u32_e32 v3, vcc, v7, v3, vcc
	v_addc_co_u32_e64 v10, s[0:1], 0, v5, s[0:1]
	v_cmp_le_u32_e32 vcc, s17, v3
	v_add_co_u32_e64 v11, s[0:1], 1, v4
	v_cndmask_b32_e64 v7, 0, -1, vcc
	v_cmp_le_u32_e32 vcc, s16, v2
	v_addc_co_u32_e64 v12, s[0:1], 0, v5, s[0:1]
	v_cndmask_b32_e64 v2, 0, -1, vcc
	v_cmp_eq_u32_e32 vcc, s17, v3
	v_cmp_ne_u32_e64 s[0:1], 0, v6
	v_cndmask_b32_e32 v2, v7, v2, vcc
	v_cndmask_b32_e64 v6, v12, v10, s[0:1]
	v_cmp_ne_u32_e32 vcc, 0, v2
	v_cndmask_b32_e64 v3, v11, v9, s[0:1]
	v_cndmask_b32_e32 v2, v5, v6, vcc
	v_cndmask_b32_e32 v3, v4, v3, vcc
	v_xor_b32_e32 v5, s14, v8
	v_xor_b32_e32 v3, v3, v5
	;; [unrolled: 1-line block ×3, first 2 shown]
	v_sub_co_u32_e32 v4, vcc, v3, v5
	v_subb_co_u32_e32 v5, vcc, v2, v5, vcc
.LBB44_3:
	s_andn2_saveexec_b64 s[0:1], s[12:13]
	s_cbranch_execz .LBB44_5
; %bb.4:
	v_cvt_f32_u32_e32 v2, s10
	s_sub_i32 s12, 0, s10
	v_rcp_iflag_f32_e32 v2, v2
	v_mul_f32_e32 v2, 0x4f7ffffe, v2
	v_cvt_u32_f32_e32 v2, v2
	v_mul_lo_u32 v3, s12, v2
	v_mul_hi_u32 v3, v2, v3
	v_add_u32_e32 v2, v2, v3
	v_mul_hi_u32 v2, v0, v2
	v_mul_lo_u32 v3, v2, s10
	v_add_u32_e32 v4, 1, v2
	v_sub_u32_e32 v3, v0, v3
	v_subrev_u32_e32 v5, s10, v3
	v_cmp_le_u32_e32 vcc, s10, v3
	v_cndmask_b32_e32 v3, v3, v5, vcc
	v_cndmask_b32_e32 v2, v2, v4, vcc
	v_add_u32_e32 v4, 1, v2
	v_cmp_le_u32_e32 vcc, s10, v3
	v_cndmask_b32_e32 v4, v2, v4, vcc
	v_mov_b32_e32 v5, 0
.LBB44_5:
	s_or_b64 exec, exec, s[0:1]
	v_or_b32_e32 v3, s3, v5
	v_mov_b32_e32 v2, 0
	v_cmp_ne_u64_e32 vcc, 0, v[2:3]
                                        ; implicit-def: $vgpr2_vgpr3
	s_and_saveexec_b64 s[0:1], vcc
	s_xor_b64 s[12:13], exec, s[0:1]
	s_cbranch_execz .LBB44_7
; %bb.6:
	s_ashr_i32 s0, s3, 31
	s_add_u32 s14, s2, s0
	s_mov_b32 s1, s0
	s_addc_u32 s15, s3, s0
	s_xor_b64 s[14:15], s[14:15], s[0:1]
	v_cvt_f32_u32_e32 v2, s14
	v_cvt_f32_u32_e32 v3, s15
	s_sub_u32 s3, 0, s14
	s_subb_u32 s16, 0, s15
	v_ashrrev_i32_e32 v9, 31, v5
	v_madmk_f32 v2, v3, 0x4f800000, v2
	v_rcp_f32_e32 v2, v2
	v_mul_f32_e32 v2, 0x5f7ffffc, v2
	v_mul_f32_e32 v3, 0x2f800000, v2
	v_trunc_f32_e32 v3, v3
	v_madmk_f32 v2, v3, 0xcf800000, v2
	v_cvt_u32_f32_e32 v3, v3
	v_cvt_u32_f32_e32 v2, v2
	v_readfirstlane_b32 s17, v3
	v_readfirstlane_b32 s0, v2
	s_mul_i32 s1, s3, s17
	s_mul_hi_u32 s19, s3, s0
	s_mul_i32 s18, s16, s0
	s_add_i32 s1, s19, s1
	s_add_i32 s1, s1, s18
	s_mul_i32 s20, s3, s0
	s_mul_i32 s19, s0, s1
	s_mul_hi_u32 s21, s0, s20
	s_mul_hi_u32 s18, s0, s1
	s_add_u32 s19, s21, s19
	s_addc_u32 s18, 0, s18
	s_mul_hi_u32 s22, s17, s20
	s_mul_i32 s20, s17, s20
	s_add_u32 s19, s19, s20
	s_mul_hi_u32 s21, s17, s1
	s_addc_u32 s18, s18, s22
	s_addc_u32 s19, s21, 0
	s_mul_i32 s1, s17, s1
	s_add_u32 s1, s18, s1
	s_addc_u32 s18, 0, s19
	s_add_u32 s19, s0, s1
	s_cselect_b64 s[0:1], -1, 0
	s_cmp_lg_u64 s[0:1], 0
	s_addc_u32 s17, s17, s18
	s_mul_i32 s0, s3, s17
	s_mul_hi_u32 s1, s3, s19
	s_add_i32 s0, s1, s0
	s_mul_i32 s16, s16, s19
	s_add_i32 s0, s0, s16
	s_mul_i32 s3, s3, s19
	s_mul_hi_u32 s16, s17, s3
	s_mul_i32 s18, s17, s3
	s_mul_i32 s21, s19, s0
	s_mul_hi_u32 s3, s19, s3
	s_mul_hi_u32 s20, s19, s0
	s_add_u32 s3, s3, s21
	s_addc_u32 s20, 0, s20
	s_add_u32 s3, s3, s18
	s_mul_hi_u32 s1, s17, s0
	s_addc_u32 s3, s20, s16
	s_addc_u32 s1, s1, 0
	s_mul_i32 s0, s17, s0
	s_add_u32 s0, s3, s0
	s_addc_u32 s3, 0, s1
	s_add_u32 s16, s19, s0
	s_cselect_b64 s[0:1], -1, 0
	s_cmp_lg_u64 s[0:1], 0
	v_add_co_u32_e32 v2, vcc, v4, v9
	s_addc_u32 s3, s17, s3
	v_xor_b32_e32 v10, v2, v9
	v_mad_u64_u32 v[2:3], s[0:1], v10, s3, 0
	v_mul_hi_u32 v7, v10, s16
	v_addc_co_u32_e32 v6, vcc, v5, v9, vcc
	v_xor_b32_e32 v11, v6, v9
	v_add_co_u32_e32 v12, vcc, v7, v2
	v_addc_co_u32_e32 v13, vcc, 0, v3, vcc
	v_mad_u64_u32 v[2:3], s[0:1], v11, s16, 0
	v_mad_u64_u32 v[6:7], s[0:1], v11, s3, 0
	v_add_co_u32_e32 v2, vcc, v12, v2
	v_addc_co_u32_e32 v2, vcc, v13, v3, vcc
	v_addc_co_u32_e32 v3, vcc, 0, v7, vcc
	v_add_co_u32_e32 v2, vcc, v2, v6
	v_addc_co_u32_e32 v3, vcc, 0, v3, vcc
	v_mul_lo_u32 v6, s15, v2
	v_mul_lo_u32 v7, s14, v3
	v_mad_u64_u32 v[2:3], s[0:1], s14, v2, 0
	v_add3_u32 v3, v3, v7, v6
	v_sub_u32_e32 v6, v11, v3
	v_mov_b32_e32 v7, s15
	v_sub_co_u32_e32 v2, vcc, v10, v2
	v_subb_co_u32_e64 v6, s[0:1], v6, v7, vcc
	v_subrev_co_u32_e64 v7, s[0:1], s14, v2
	v_subbrev_co_u32_e64 v6, s[0:1], 0, v6, s[0:1]
	v_cmp_le_u32_e64 s[0:1], s15, v6
	v_subb_co_u32_e32 v3, vcc, v11, v3, vcc
	v_cndmask_b32_e64 v10, 0, -1, s[0:1]
	v_cmp_le_u32_e64 s[0:1], s14, v7
	v_cmp_le_u32_e32 vcc, s15, v3
	v_cndmask_b32_e64 v12, 0, -1, s[0:1]
	v_cmp_eq_u32_e64 s[0:1], s15, v6
	v_cndmask_b32_e64 v11, 0, -1, vcc
	v_cmp_le_u32_e32 vcc, s14, v2
	v_cndmask_b32_e64 v6, v10, v12, s[0:1]
	v_cndmask_b32_e64 v12, 0, -1, vcc
	v_cmp_eq_u32_e32 vcc, s15, v3
	v_subrev_co_u32_e64 v10, s[0:1], s14, v7
	v_cndmask_b32_e32 v3, v11, v12, vcc
	v_cmp_ne_u32_e32 vcc, 0, v6
	v_cndmask_b32_e32 v6, v7, v10, vcc
	v_cmp_ne_u32_e32 vcc, 0, v3
	v_cndmask_b32_e32 v2, v2, v6, vcc
	v_xor_b32_e32 v2, v2, v9
	v_sub_co_u32_e32 v2, vcc, v2, v9
.LBB44_7:
	s_andn2_saveexec_b64 s[0:1], s[12:13]
	s_cbranch_execz .LBB44_9
; %bb.8:
	v_cvt_f32_u32_e32 v2, s2
	s_sub_i32 s3, 0, s2
	v_rcp_iflag_f32_e32 v2, v2
	v_mul_f32_e32 v2, 0x4f7ffffe, v2
	v_cvt_u32_f32_e32 v2, v2
	v_mul_lo_u32 v3, s3, v2
	v_mul_hi_u32 v3, v2, v3
	v_add_u32_e32 v2, v2, v3
	v_mul_hi_u32 v2, v4, v2
	v_mul_lo_u32 v2, v2, s2
	v_sub_u32_e32 v2, v4, v2
	v_subrev_u32_e32 v3, s2, v2
	v_cmp_le_u32_e32 vcc, s2, v2
	v_cndmask_b32_e32 v2, v2, v3, vcc
	v_subrev_u32_e32 v3, s2, v2
	v_cmp_le_u32_e32 vcc, s2, v2
	v_cndmask_b32_e32 v2, v2, v3, vcc
.LBB44_9:
	s_or_b64 exec, exec, s[0:1]
	v_or_b32_e32 v7, s9, v1
	v_mov_b32_e32 v6, 0
	v_cmp_ne_u64_e32 vcc, 0, v[6:7]
                                        ; implicit-def: $vgpr6_vgpr7
	s_and_saveexec_b64 s[0:1], vcc
	s_xor_b64 s[2:3], exec, s[0:1]
	s_cbranch_execz .LBB44_11
; %bb.10:
	s_ashr_i32 s12, s9, 31
	s_add_u32 s0, s6, s12
	s_mov_b32 s13, s12
	s_addc_u32 s1, s9, s12
	s_xor_b64 s[14:15], s[0:1], s[12:13]
	v_cvt_f32_u32_e32 v3, s14
	v_cvt_f32_u32_e32 v6, s15
	s_sub_u32 s9, 0, s14
	s_subb_u32 s13, 0, s15
	v_madmk_f32 v3, v6, 0x4f800000, v3
	v_rcp_f32_e32 v3, v3
	v_mul_f32_e32 v3, 0x5f7ffffc, v3
	v_mul_f32_e32 v6, 0x2f800000, v3
	v_trunc_f32_e32 v6, v6
	v_madmk_f32 v3, v6, 0xcf800000, v3
	v_cvt_u32_f32_e32 v6, v6
	v_cvt_u32_f32_e32 v3, v3
	v_readfirstlane_b32 s16, v6
	v_readfirstlane_b32 s0, v3
	s_mul_i32 s1, s9, s16
	s_mul_hi_u32 s18, s9, s0
	s_mul_i32 s17, s13, s0
	s_add_i32 s1, s18, s1
	s_add_i32 s1, s1, s17
	s_mul_i32 s19, s9, s0
	s_mul_i32 s18, s0, s1
	s_mul_hi_u32 s20, s0, s19
	s_mul_hi_u32 s17, s0, s1
	s_add_u32 s18, s20, s18
	s_addc_u32 s17, 0, s17
	s_mul_hi_u32 s21, s16, s19
	s_mul_i32 s19, s16, s19
	s_add_u32 s18, s18, s19
	s_mul_hi_u32 s20, s16, s1
	s_addc_u32 s17, s17, s21
	s_addc_u32 s18, s20, 0
	s_mul_i32 s1, s16, s1
	s_add_u32 s1, s17, s1
	s_addc_u32 s17, 0, s18
	s_add_u32 s18, s0, s1
	s_cselect_b64 s[0:1], -1, 0
	s_cmp_lg_u64 s[0:1], 0
	s_addc_u32 s16, s16, s17
	s_mul_i32 s0, s9, s16
	s_mul_hi_u32 s1, s9, s18
	s_add_i32 s0, s1, s0
	s_mul_i32 s13, s13, s18
	s_add_i32 s0, s0, s13
	s_mul_i32 s9, s9, s18
	s_mul_hi_u32 s13, s16, s9
	s_mul_i32 s17, s16, s9
	s_mul_i32 s20, s18, s0
	s_mul_hi_u32 s9, s18, s9
	s_mul_hi_u32 s19, s18, s0
	s_add_u32 s9, s9, s20
	s_addc_u32 s19, 0, s19
	s_add_u32 s9, s9, s17
	s_mul_hi_u32 s1, s16, s0
	s_addc_u32 s9, s19, s13
	s_addc_u32 s1, s1, 0
	s_mul_i32 s0, s16, s0
	s_add_u32 s0, s9, s0
	s_addc_u32 s9, 0, s1
	s_add_u32 s13, s18, s0
	s_cselect_b64 s[0:1], -1, 0
	s_cmp_lg_u64 s[0:1], 0
	v_add_co_u32_e32 v3, vcc, v0, v8
	s_addc_u32 s9, s16, s9
	v_xor_b32_e32 v3, v3, v8
	v_mad_u64_u32 v[6:7], s[0:1], v3, s9, 0
	v_mul_hi_u32 v10, v3, s13
	v_addc_co_u32_e32 v9, vcc, v1, v8, vcc
	v_xor_b32_e32 v11, v9, v8
	v_add_co_u32_e32 v12, vcc, v10, v6
	v_addc_co_u32_e32 v13, vcc, 0, v7, vcc
	v_mad_u64_u32 v[6:7], s[0:1], v11, s13, 0
	v_mad_u64_u32 v[9:10], s[0:1], v11, s9, 0
	v_add_co_u32_e32 v6, vcc, v12, v6
	v_addc_co_u32_e32 v6, vcc, v13, v7, vcc
	v_addc_co_u32_e32 v7, vcc, 0, v10, vcc
	v_add_co_u32_e32 v9, vcc, v6, v9
	v_addc_co_u32_e32 v6, vcc, 0, v7, vcc
	v_mul_lo_u32 v10, s15, v9
	v_mul_lo_u32 v12, s14, v6
	v_mad_u64_u32 v[6:7], s[0:1], s14, v9, 0
	v_add3_u32 v7, v7, v12, v10
	v_sub_u32_e32 v10, v11, v7
	v_mov_b32_e32 v12, s15
	v_sub_co_u32_e32 v3, vcc, v3, v6
	v_subb_co_u32_e64 v6, s[0:1], v10, v12, vcc
	v_subrev_co_u32_e64 v10, s[0:1], s14, v3
	v_subbrev_co_u32_e64 v6, s[0:1], 0, v6, s[0:1]
	v_cmp_le_u32_e64 s[0:1], s15, v6
	v_subb_co_u32_e32 v7, vcc, v11, v7, vcc
	v_cndmask_b32_e64 v12, 0, -1, s[0:1]
	v_cmp_le_u32_e64 s[0:1], s14, v10
	v_cmp_le_u32_e32 vcc, s15, v7
	v_cndmask_b32_e64 v10, 0, -1, s[0:1]
	v_cmp_eq_u32_e64 s[0:1], s15, v6
	v_cndmask_b32_e64 v11, 0, -1, vcc
	v_cmp_le_u32_e32 vcc, s14, v3
	v_cndmask_b32_e64 v6, v12, v10, s[0:1]
	v_cndmask_b32_e64 v3, 0, -1, vcc
	v_cmp_eq_u32_e32 vcc, s15, v7
	v_add_co_u32_e64 v10, s[0:1], 2, v9
	v_add_co_u32_e64 v12, s[0:1], 1, v9
	v_cndmask_b32_e32 v3, v11, v3, vcc
	v_cmp_ne_u32_e32 vcc, 0, v6
	v_cndmask_b32_e32 v6, v12, v10, vcc
	v_cmp_ne_u32_e32 vcc, 0, v3
	v_cndmask_b32_e32 v3, v9, v6, vcc
	v_xor_b32_e32 v6, s12, v8
	v_xor_b32_e32 v3, v3, v6
	v_sub_co_u32_e32 v6, vcc, v3, v6
.LBB44_11:
	s_andn2_saveexec_b64 s[0:1], s[2:3]
	s_cbranch_execz .LBB44_13
; %bb.12:
	v_cvt_f32_u32_e32 v3, s6
	s_sub_i32 s2, 0, s6
	v_rcp_iflag_f32_e32 v3, v3
	v_mul_f32_e32 v3, 0x4f7ffffe, v3
	v_cvt_u32_f32_e32 v3, v3
	v_mul_lo_u32 v6, s2, v3
	v_mul_hi_u32 v6, v3, v6
	v_add_u32_e32 v3, v3, v6
	v_mul_hi_u32 v3, v0, v3
	v_mul_lo_u32 v6, v3, s6
	v_add_u32_e32 v7, 1, v3
	v_sub_u32_e32 v6, v0, v6
	v_subrev_u32_e32 v8, s6, v6
	v_cmp_le_u32_e32 vcc, s6, v6
	v_cndmask_b32_e32 v6, v6, v8, vcc
	v_cndmask_b32_e32 v3, v3, v7, vcc
	v_add_u32_e32 v7, 1, v3
	v_cmp_le_u32_e32 vcc, s6, v6
	v_cndmask_b32_e32 v6, v3, v7, vcc
.LBB44_13:
	s_or_b64 exec, exec, s[0:1]
	v_mul_lo_u32 v7, v4, s11
	v_mad_u64_u32 v[3:4], s[0:1], v4, s10, 0
	s_load_dwordx4 s[0:3], s[4:5], 0xb0
	s_load_dword s6, s[4:5], 0xc0
	v_mul_lo_u32 v5, v5, s10
	v_sub_co_u32_e32 v0, vcc, v0, v3
	s_waitcnt lgkmcnt(0)
	s_add_i32 s27, s3, s7
	s_add_i32 s26, s6, s8
	s_load_dwordx16 s[8:23], s[4:5], 0x18
	s_sub_i32 s3, 0, s2
	s_max_i32 s30, s2, 0
	v_max_i32_e32 v3, s2, v0
	s_max_i32 s3, s3, 0
	s_waitcnt lgkmcnt(0)
	s_add_i32 s2, s2, s12
	s_add_i32 s2, s2, -1
	v_min_i32_e32 v3, s2, v3
	s_sub_i32 s2, s3, s30
	v_add3_u32 v4, v4, v7, v5
	s_sub_i32 s6, 0, s1
	s_max_i32 s9, s1, 0
	v_add_u32_e32 v5, s2, v3
	v_max_i32_e32 v3, s1, v2
	s_add_i32 s1, s1, s10
	s_max_i32 s28, s6, 0
	s_add_i32 s1, s1, -1
	v_min_i32_e32 v3, s1, v3
	s_sub_i32 s1, s28, s9
	s_sub_i32 s6, 0, s0
	s_max_i32 s11, s0, 0
	v_add_u32_e32 v7, s1, v3
	v_max_i32_e32 v3, s0, v6
	s_add_i32 s0, s0, s8
	s_max_i32 s29, s6, 0
	s_add_i32 s0, s0, -1
	s_load_dwordx2 s[6:7], s[4:5], 0x0
	v_min_i32_e32 v3, s0, v3
	s_sub_i32 s0, s29, s11
	s_ashr_i32 s28, s26, 31
	v_add_u32_e32 v3, s0, v3
	s_mul_i32 s0, s14, s28
	s_mul_hi_u32 s1, s14, s26
	s_add_i32 s0, s1, s0
	s_mul_i32 s1, s15, s26
	s_add_i32 s1, s0, s1
	s_mul_i32 s0, s14, s26
	s_lshl_b64 s[0:1], s[0:1], 1
	s_waitcnt lgkmcnt(0)
	s_add_u32 s6, s6, s0
	s_addc_u32 s7, s7, s1
	s_ashr_i32 s29, s27, 31
	v_subb_co_u32_e32 v1, vcc, v1, v4, vcc
	s_mul_i32 s0, s16, s29
	s_mul_hi_u32 s1, s16, s27
	v_ashrrev_i32_e32 v4, 31, v3
	s_add_i32 s0, s1, s0
	s_mul_i32 s1, s17, s27
	v_mul_lo_u32 v8, s18, v4
	v_mul_lo_u32 v9, s19, v3
	v_mad_u64_u32 v[3:4], s[2:3], s18, v3, 0
	s_add_i32 s1, s0, s1
	s_mul_i32 s0, s16, s27
	s_lshl_b64 s[0:1], s[0:1], 1
	s_add_u32 s2, s6, s0
	s_addc_u32 s0, s7, s1
	v_add3_u32 v4, v4, v8, v9
	v_ashrrev_i32_e32 v8, 31, v7
	v_mov_b32_e32 v9, s0
	v_mul_lo_u32 v10, s20, v8
	v_mul_lo_u32 v11, s21, v7
	v_mad_u64_u32 v[7:8], s[0:1], s20, v7, 0
	v_lshlrev_b64 v[3:4], 1, v[3:4]
	s_load_dwordx2 s[24:25], s[4:5], 0xa8
	v_add_co_u32_e32 v12, vcc, s2, v3
	v_add3_u32 v8, v8, v10, v11
	v_addc_co_u32_e32 v9, vcc, v9, v4, vcc
	v_lshlrev_b64 v[3:4], 1, v[7:8]
	v_ashrrev_i32_e32 v7, 31, v5
	v_mul_lo_u32 v10, s22, v7
	v_mul_lo_u32 v11, s23, v5
	v_mad_u64_u32 v[7:8], s[0:1], s22, v5, 0
	v_add_co_u32_e32 v5, vcc, v12, v3
	v_add3_u32 v8, v8, v10, v11
	v_addc_co_u32_e32 v9, vcc, v9, v4, vcc
	v_lshlrev_b64 v[3:4], 1, v[7:8]
	v_add_co_u32_e32 v3, vcc, v5, v3
	v_addc_co_u32_e32 v4, vcc, v9, v4, vcc
	global_load_ushort v7, v[3:4], off
	s_load_dwordx8 s[8:15], s[4:5], 0x88
	s_load_dwordx2 s[0:1], s[4:5], 0x58
	v_ashrrev_i32_e32 v3, 31, v6
	s_waitcnt lgkmcnt(0)
	s_mul_i32 s2, s8, s28
	s_mul_hi_u32 s3, s8, s26
	s_add_i32 s2, s3, s2
	s_mul_i32 s3, s9, s26
	s_add_i32 s3, s2, s3
	s_mul_i32 s2, s8, s26
	s_lshl_b64 s[2:3], s[2:3], 1
	s_add_u32 s4, s0, s2
	s_addc_u32 s5, s1, s3
	s_mul_i32 s0, s10, s29
	s_mul_hi_u32 s1, s10, s27
	s_add_i32 s0, s1, s0
	s_mul_i32 s1, s11, s27
	v_mul_lo_u32 v5, s13, v6
	v_mul_lo_u32 v8, s12, v3
	v_mad_u64_u32 v[3:4], s[2:3], s12, v6, 0
	s_add_i32 s1, s0, s1
	s_mul_i32 s0, s10, s27
	s_lshl_b64 s[0:1], s[0:1], 1
	s_add_u32 s2, s4, s0
	s_addc_u32 s0, s5, s1
	v_add3_u32 v4, v4, v8, v5
	v_ashrrev_i32_e32 v5, 31, v2
	v_mov_b32_e32 v8, s0
	v_mul_lo_u32 v9, s15, v2
	v_mul_lo_u32 v10, s14, v5
	v_mad_u64_u32 v[5:6], s[0:1], s14, v2, 0
	v_lshlrev_b64 v[3:4], 1, v[3:4]
	v_add3_u32 v6, v6, v10, v9
	v_add_co_u32_e32 v11, vcc, s2, v3
	v_lshlrev_b64 v[2:3], 1, v[5:6]
	v_mul_lo_u32 v5, s25, v0
	v_mul_lo_u32 v6, s24, v1
	v_mad_u64_u32 v[0:1], s[0:1], s24, v0, 0
	v_addc_co_u32_e32 v4, vcc, v8, v4, vcc
	v_add3_u32 v1, v1, v6, v5
	v_add_co_u32_e32 v2, vcc, v11, v2
	v_lshlrev_b64 v[0:1], 1, v[0:1]
	v_addc_co_u32_e32 v3, vcc, v4, v3, vcc
	v_add_co_u32_e32 v0, vcc, v2, v0
	v_addc_co_u32_e32 v1, vcc, v3, v1, vcc
	s_waitcnt vmcnt(0)
	global_store_short v[0:1], v7, off
.LBB44_14:
	s_endpgm
	.section	.rodata,"a",@progbits
	.p2align	6, 0x0
	.amdhsa_kernel _ZN2at6native12_GLOBAL__N_132replication_pad_forward_kernel3dIsEEvN5torch10headeronly6detail27GenericPackedTensorAccessorINS5_14TensorAccessorIN3c108ArrayRefIlEEKT_Lm4ENS4_16DefaultPtrTraitsElEENS_6detail16IndexBoundsCheckILm5ElEESC_Lm5ESD_lEENS6_INS7_ISA_SB_Lm4ESD_lEESH_SB_Lm5ESD_lEEiiiii
		.amdhsa_group_segment_fixed_size 0
		.amdhsa_private_segment_fixed_size 0
		.amdhsa_kernarg_size 456
		.amdhsa_user_sgpr_count 6
		.amdhsa_user_sgpr_private_segment_buffer 1
		.amdhsa_user_sgpr_dispatch_ptr 0
		.amdhsa_user_sgpr_queue_ptr 0
		.amdhsa_user_sgpr_kernarg_segment_ptr 1
		.amdhsa_user_sgpr_dispatch_id 0
		.amdhsa_user_sgpr_flat_scratch_init 0
		.amdhsa_user_sgpr_private_segment_size 0
		.amdhsa_uses_dynamic_stack 0
		.amdhsa_system_sgpr_private_segment_wavefront_offset 0
		.amdhsa_system_sgpr_workgroup_id_x 1
		.amdhsa_system_sgpr_workgroup_id_y 1
		.amdhsa_system_sgpr_workgroup_id_z 1
		.amdhsa_system_sgpr_workgroup_info 0
		.amdhsa_system_vgpr_workitem_id 0
		.amdhsa_next_free_vgpr 14
		.amdhsa_next_free_sgpr 31
		.amdhsa_reserve_vcc 1
		.amdhsa_reserve_flat_scratch 0
		.amdhsa_float_round_mode_32 0
		.amdhsa_float_round_mode_16_64 0
		.amdhsa_float_denorm_mode_32 3
		.amdhsa_float_denorm_mode_16_64 3
		.amdhsa_dx10_clamp 1
		.amdhsa_ieee_mode 1
		.amdhsa_fp16_overflow 0
		.amdhsa_exception_fp_ieee_invalid_op 0
		.amdhsa_exception_fp_denorm_src 0
		.amdhsa_exception_fp_ieee_div_zero 0
		.amdhsa_exception_fp_ieee_overflow 0
		.amdhsa_exception_fp_ieee_underflow 0
		.amdhsa_exception_fp_ieee_inexact 0
		.amdhsa_exception_int_div_zero 0
	.end_amdhsa_kernel
	.section	.text._ZN2at6native12_GLOBAL__N_132replication_pad_forward_kernel3dIsEEvN5torch10headeronly6detail27GenericPackedTensorAccessorINS5_14TensorAccessorIN3c108ArrayRefIlEEKT_Lm4ENS4_16DefaultPtrTraitsElEENS_6detail16IndexBoundsCheckILm5ElEESC_Lm5ESD_lEENS6_INS7_ISA_SB_Lm4ESD_lEESH_SB_Lm5ESD_lEEiiiii,"axG",@progbits,_ZN2at6native12_GLOBAL__N_132replication_pad_forward_kernel3dIsEEvN5torch10headeronly6detail27GenericPackedTensorAccessorINS5_14TensorAccessorIN3c108ArrayRefIlEEKT_Lm4ENS4_16DefaultPtrTraitsElEENS_6detail16IndexBoundsCheckILm5ElEESC_Lm5ESD_lEENS6_INS7_ISA_SB_Lm4ESD_lEESH_SB_Lm5ESD_lEEiiiii,comdat
.Lfunc_end44:
	.size	_ZN2at6native12_GLOBAL__N_132replication_pad_forward_kernel3dIsEEvN5torch10headeronly6detail27GenericPackedTensorAccessorINS5_14TensorAccessorIN3c108ArrayRefIlEEKT_Lm4ENS4_16DefaultPtrTraitsElEENS_6detail16IndexBoundsCheckILm5ElEESC_Lm5ESD_lEENS6_INS7_ISA_SB_Lm4ESD_lEESH_SB_Lm5ESD_lEEiiiii, .Lfunc_end44-_ZN2at6native12_GLOBAL__N_132replication_pad_forward_kernel3dIsEEvN5torch10headeronly6detail27GenericPackedTensorAccessorINS5_14TensorAccessorIN3c108ArrayRefIlEEKT_Lm4ENS4_16DefaultPtrTraitsElEENS_6detail16IndexBoundsCheckILm5ElEESC_Lm5ESD_lEENS6_INS7_ISA_SB_Lm4ESD_lEESH_SB_Lm5ESD_lEEiiiii
                                        ; -- End function
	.set _ZN2at6native12_GLOBAL__N_132replication_pad_forward_kernel3dIsEEvN5torch10headeronly6detail27GenericPackedTensorAccessorINS5_14TensorAccessorIN3c108ArrayRefIlEEKT_Lm4ENS4_16DefaultPtrTraitsElEENS_6detail16IndexBoundsCheckILm5ElEESC_Lm5ESD_lEENS6_INS7_ISA_SB_Lm4ESD_lEESH_SB_Lm5ESD_lEEiiiii.num_vgpr, 14
	.set _ZN2at6native12_GLOBAL__N_132replication_pad_forward_kernel3dIsEEvN5torch10headeronly6detail27GenericPackedTensorAccessorINS5_14TensorAccessorIN3c108ArrayRefIlEEKT_Lm4ENS4_16DefaultPtrTraitsElEENS_6detail16IndexBoundsCheckILm5ElEESC_Lm5ESD_lEENS6_INS7_ISA_SB_Lm4ESD_lEESH_SB_Lm5ESD_lEEiiiii.num_agpr, 0
	.set _ZN2at6native12_GLOBAL__N_132replication_pad_forward_kernel3dIsEEvN5torch10headeronly6detail27GenericPackedTensorAccessorINS5_14TensorAccessorIN3c108ArrayRefIlEEKT_Lm4ENS4_16DefaultPtrTraitsElEENS_6detail16IndexBoundsCheckILm5ElEESC_Lm5ESD_lEENS6_INS7_ISA_SB_Lm4ESD_lEESH_SB_Lm5ESD_lEEiiiii.numbered_sgpr, 31
	.set _ZN2at6native12_GLOBAL__N_132replication_pad_forward_kernel3dIsEEvN5torch10headeronly6detail27GenericPackedTensorAccessorINS5_14TensorAccessorIN3c108ArrayRefIlEEKT_Lm4ENS4_16DefaultPtrTraitsElEENS_6detail16IndexBoundsCheckILm5ElEESC_Lm5ESD_lEENS6_INS7_ISA_SB_Lm4ESD_lEESH_SB_Lm5ESD_lEEiiiii.num_named_barrier, 0
	.set _ZN2at6native12_GLOBAL__N_132replication_pad_forward_kernel3dIsEEvN5torch10headeronly6detail27GenericPackedTensorAccessorINS5_14TensorAccessorIN3c108ArrayRefIlEEKT_Lm4ENS4_16DefaultPtrTraitsElEENS_6detail16IndexBoundsCheckILm5ElEESC_Lm5ESD_lEENS6_INS7_ISA_SB_Lm4ESD_lEESH_SB_Lm5ESD_lEEiiiii.private_seg_size, 0
	.set _ZN2at6native12_GLOBAL__N_132replication_pad_forward_kernel3dIsEEvN5torch10headeronly6detail27GenericPackedTensorAccessorINS5_14TensorAccessorIN3c108ArrayRefIlEEKT_Lm4ENS4_16DefaultPtrTraitsElEENS_6detail16IndexBoundsCheckILm5ElEESC_Lm5ESD_lEENS6_INS7_ISA_SB_Lm4ESD_lEESH_SB_Lm5ESD_lEEiiiii.uses_vcc, 1
	.set _ZN2at6native12_GLOBAL__N_132replication_pad_forward_kernel3dIsEEvN5torch10headeronly6detail27GenericPackedTensorAccessorINS5_14TensorAccessorIN3c108ArrayRefIlEEKT_Lm4ENS4_16DefaultPtrTraitsElEENS_6detail16IndexBoundsCheckILm5ElEESC_Lm5ESD_lEENS6_INS7_ISA_SB_Lm4ESD_lEESH_SB_Lm5ESD_lEEiiiii.uses_flat_scratch, 0
	.set _ZN2at6native12_GLOBAL__N_132replication_pad_forward_kernel3dIsEEvN5torch10headeronly6detail27GenericPackedTensorAccessorINS5_14TensorAccessorIN3c108ArrayRefIlEEKT_Lm4ENS4_16DefaultPtrTraitsElEENS_6detail16IndexBoundsCheckILm5ElEESC_Lm5ESD_lEENS6_INS7_ISA_SB_Lm4ESD_lEESH_SB_Lm5ESD_lEEiiiii.has_dyn_sized_stack, 0
	.set _ZN2at6native12_GLOBAL__N_132replication_pad_forward_kernel3dIsEEvN5torch10headeronly6detail27GenericPackedTensorAccessorINS5_14TensorAccessorIN3c108ArrayRefIlEEKT_Lm4ENS4_16DefaultPtrTraitsElEENS_6detail16IndexBoundsCheckILm5ElEESC_Lm5ESD_lEENS6_INS7_ISA_SB_Lm4ESD_lEESH_SB_Lm5ESD_lEEiiiii.has_recursion, 0
	.set _ZN2at6native12_GLOBAL__N_132replication_pad_forward_kernel3dIsEEvN5torch10headeronly6detail27GenericPackedTensorAccessorINS5_14TensorAccessorIN3c108ArrayRefIlEEKT_Lm4ENS4_16DefaultPtrTraitsElEENS_6detail16IndexBoundsCheckILm5ElEESC_Lm5ESD_lEENS6_INS7_ISA_SB_Lm4ESD_lEESH_SB_Lm5ESD_lEEiiiii.has_indirect_call, 0
	.section	.AMDGPU.csdata,"",@progbits
; Kernel info:
; codeLenInByte = 2952
; TotalNumSgprs: 35
; NumVgprs: 14
; ScratchSize: 0
; MemoryBound: 0
; FloatMode: 240
; IeeeMode: 1
; LDSByteSize: 0 bytes/workgroup (compile time only)
; SGPRBlocks: 4
; VGPRBlocks: 3
; NumSGPRsForWavesPerEU: 35
; NumVGPRsForWavesPerEU: 14
; Occupancy: 10
; WaveLimiterHint : 1
; COMPUTE_PGM_RSRC2:SCRATCH_EN: 0
; COMPUTE_PGM_RSRC2:USER_SGPR: 6
; COMPUTE_PGM_RSRC2:TRAP_HANDLER: 0
; COMPUTE_PGM_RSRC2:TGID_X_EN: 1
; COMPUTE_PGM_RSRC2:TGID_Y_EN: 1
; COMPUTE_PGM_RSRC2:TGID_Z_EN: 1
; COMPUTE_PGM_RSRC2:TIDIG_COMP_CNT: 0
	.section	.text._ZN2at6native12_GLOBAL__N_132replication_pad_forward_kernel3dIdEEvN5torch10headeronly6detail27GenericPackedTensorAccessorINS5_14TensorAccessorIN3c108ArrayRefIlEEKT_Lm4ENS4_16DefaultPtrTraitsElEENS_6detail16IndexBoundsCheckILm5ElEESC_Lm5ESD_lEENS6_INS7_ISA_SB_Lm4ESD_lEESH_SB_Lm5ESD_lEEiiiii,"axG",@progbits,_ZN2at6native12_GLOBAL__N_132replication_pad_forward_kernel3dIdEEvN5torch10headeronly6detail27GenericPackedTensorAccessorINS5_14TensorAccessorIN3c108ArrayRefIlEEKT_Lm4ENS4_16DefaultPtrTraitsElEENS_6detail16IndexBoundsCheckILm5ElEESC_Lm5ESD_lEENS6_INS7_ISA_SB_Lm4ESD_lEESH_SB_Lm5ESD_lEEiiiii,comdat
	.globl	_ZN2at6native12_GLOBAL__N_132replication_pad_forward_kernel3dIdEEvN5torch10headeronly6detail27GenericPackedTensorAccessorINS5_14TensorAccessorIN3c108ArrayRefIlEEKT_Lm4ENS4_16DefaultPtrTraitsElEENS_6detail16IndexBoundsCheckILm5ElEESC_Lm5ESD_lEENS6_INS7_ISA_SB_Lm4ESD_lEESH_SB_Lm5ESD_lEEiiiii ; -- Begin function _ZN2at6native12_GLOBAL__N_132replication_pad_forward_kernel3dIdEEvN5torch10headeronly6detail27GenericPackedTensorAccessorINS5_14TensorAccessorIN3c108ArrayRefIlEEKT_Lm4ENS4_16DefaultPtrTraitsElEENS_6detail16IndexBoundsCheckILm5ElEESC_Lm5ESD_lEENS6_INS7_ISA_SB_Lm4ESD_lEESH_SB_Lm5ESD_lEEiiiii
	.p2align	8
	.type	_ZN2at6native12_GLOBAL__N_132replication_pad_forward_kernel3dIdEEvN5torch10headeronly6detail27GenericPackedTensorAccessorINS5_14TensorAccessorIN3c108ArrayRefIlEEKT_Lm4ENS4_16DefaultPtrTraitsElEENS_6detail16IndexBoundsCheckILm5ElEESC_Lm5ESD_lEENS6_INS7_ISA_SB_Lm4ESD_lEESH_SB_Lm5ESD_lEEiiiii,@function
_ZN2at6native12_GLOBAL__N_132replication_pad_forward_kernel3dIdEEvN5torch10headeronly6detail27GenericPackedTensorAccessorINS5_14TensorAccessorIN3c108ArrayRefIlEEKT_Lm4ENS4_16DefaultPtrTraitsElEENS_6detail16IndexBoundsCheckILm5ElEESC_Lm5ESD_lEENS6_INS7_ISA_SB_Lm4ESD_lEESH_SB_Lm5ESD_lEEiiiii: ; @_ZN2at6native12_GLOBAL__N_132replication_pad_forward_kernel3dIdEEvN5torch10headeronly6detail27GenericPackedTensorAccessorINS5_14TensorAccessorIN3c108ArrayRefIlEEKT_Lm4ENS4_16DefaultPtrTraitsElEENS_6detail16IndexBoundsCheckILm5ElEESC_Lm5ESD_lEENS6_INS7_ISA_SB_Lm4ESD_lEESH_SB_Lm5ESD_lEEiiiii
; %bb.0:
	s_load_dword s9, s[4:5], 0xd4
	s_load_dwordx4 s[0:3], s[4:5], 0x70
	s_load_dwordx2 s[10:11], s[4:5], 0x80
	s_waitcnt lgkmcnt(0)
	s_and_b32 s9, s9, 0xffff
	s_mul_i32 s6, s6, s9
	v_add_u32_e32 v0, s6, v0
	s_mul_i32 s6, s10, s3
	s_mul_hi_u32 s9, s10, s2
	s_add_i32 s9, s9, s6
	s_mul_i32 s6, s11, s2
	s_add_i32 s9, s9, s6
	s_mul_i32 s6, s10, s2
	s_mul_i32 s1, s6, s1
	s_mul_hi_u32 s12, s6, s0
	s_add_i32 s1, s12, s1
	s_mul_i32 s12, s9, s0
	v_ashrrev_i32_e32 v1, 31, v0
	s_add_i32 s1, s1, s12
	s_mul_i32 s0, s6, s0
	v_cmp_gt_i64_e32 vcc, s[0:1], v[0:1]
	s_and_saveexec_b64 s[0:1], vcc
	s_cbranch_execz .LBB45_14
; %bb.1:
	v_or_b32_e32 v3, s11, v1
	v_mov_b32_e32 v2, 0
	v_cmp_ne_u64_e32 vcc, 0, v[2:3]
	v_ashrrev_i32_e32 v8, 31, v1
                                        ; implicit-def: $vgpr4_vgpr5
	s_and_saveexec_b64 s[0:1], vcc
	s_xor_b64 s[12:13], exec, s[0:1]
	s_cbranch_execz .LBB45_3
; %bb.2:
	s_ashr_i32 s14, s11, 31
	s_add_u32 s0, s10, s14
	s_mov_b32 s15, s14
	s_addc_u32 s1, s11, s14
	s_xor_b64 s[16:17], s[0:1], s[14:15]
	v_cvt_f32_u32_e32 v2, s16
	v_cvt_f32_u32_e32 v3, s17
	s_sub_u32 s15, 0, s16
	s_subb_u32 s18, 0, s17
	v_madmk_f32 v2, v3, 0x4f800000, v2
	v_rcp_f32_e32 v2, v2
	v_mul_f32_e32 v2, 0x5f7ffffc, v2
	v_mul_f32_e32 v3, 0x2f800000, v2
	v_trunc_f32_e32 v3, v3
	v_madmk_f32 v2, v3, 0xcf800000, v2
	v_cvt_u32_f32_e32 v3, v3
	v_cvt_u32_f32_e32 v2, v2
	v_readfirstlane_b32 s19, v3
	v_readfirstlane_b32 s0, v2
	s_mul_i32 s1, s15, s19
	s_mul_hi_u32 s21, s15, s0
	s_mul_i32 s20, s18, s0
	s_add_i32 s1, s21, s1
	s_add_i32 s1, s1, s20
	s_mul_i32 s22, s15, s0
	s_mul_i32 s21, s0, s1
	s_mul_hi_u32 s23, s0, s22
	s_mul_hi_u32 s20, s0, s1
	s_add_u32 s21, s23, s21
	s_addc_u32 s20, 0, s20
	s_mul_hi_u32 s24, s19, s22
	s_mul_i32 s22, s19, s22
	s_add_u32 s21, s21, s22
	s_mul_hi_u32 s23, s19, s1
	s_addc_u32 s20, s20, s24
	s_addc_u32 s21, s23, 0
	s_mul_i32 s1, s19, s1
	s_add_u32 s1, s20, s1
	s_addc_u32 s20, 0, s21
	s_add_u32 s21, s0, s1
	s_cselect_b64 s[0:1], -1, 0
	s_cmp_lg_u64 s[0:1], 0
	s_addc_u32 s19, s19, s20
	s_mul_i32 s0, s15, s19
	s_mul_hi_u32 s1, s15, s21
	s_add_i32 s0, s1, s0
	s_mul_i32 s18, s18, s21
	s_add_i32 s0, s0, s18
	s_mul_i32 s15, s15, s21
	s_mul_hi_u32 s18, s19, s15
	s_mul_i32 s20, s19, s15
	s_mul_i32 s23, s21, s0
	s_mul_hi_u32 s15, s21, s15
	s_mul_hi_u32 s22, s21, s0
	s_add_u32 s15, s15, s23
	s_addc_u32 s22, 0, s22
	s_add_u32 s15, s15, s20
	s_mul_hi_u32 s1, s19, s0
	s_addc_u32 s15, s22, s18
	s_addc_u32 s1, s1, 0
	s_mul_i32 s0, s19, s0
	s_add_u32 s0, s15, s0
	s_addc_u32 s15, 0, s1
	s_add_u32 s18, s21, s0
	s_cselect_b64 s[0:1], -1, 0
	s_cmp_lg_u64 s[0:1], 0
	v_add_co_u32_e32 v2, vcc, v0, v8
	s_addc_u32 s15, s19, s15
	v_xor_b32_e32 v6, v2, v8
	v_mad_u64_u32 v[2:3], s[0:1], v6, s15, 0
	v_mul_hi_u32 v5, v6, s18
	v_addc_co_u32_e32 v4, vcc, v1, v8, vcc
	v_xor_b32_e32 v7, v4, v8
	v_add_co_u32_e32 v9, vcc, v5, v2
	v_addc_co_u32_e32 v10, vcc, 0, v3, vcc
	v_mad_u64_u32 v[2:3], s[0:1], v7, s18, 0
	v_mad_u64_u32 v[4:5], s[0:1], v7, s15, 0
	v_add_co_u32_e32 v2, vcc, v9, v2
	v_addc_co_u32_e32 v2, vcc, v10, v3, vcc
	v_addc_co_u32_e32 v3, vcc, 0, v5, vcc
	v_add_co_u32_e32 v4, vcc, v2, v4
	v_addc_co_u32_e32 v5, vcc, 0, v3, vcc
	v_mul_lo_u32 v9, s17, v4
	v_mul_lo_u32 v10, s16, v5
	v_mad_u64_u32 v[2:3], s[0:1], s16, v4, 0
	v_add3_u32 v3, v3, v10, v9
	v_sub_u32_e32 v9, v7, v3
	v_mov_b32_e32 v10, s17
	v_sub_co_u32_e32 v2, vcc, v6, v2
	v_subb_co_u32_e64 v6, s[0:1], v9, v10, vcc
	v_subrev_co_u32_e64 v9, s[0:1], s16, v2
	v_subbrev_co_u32_e64 v6, s[0:1], 0, v6, s[0:1]
	v_cmp_le_u32_e64 s[0:1], s17, v6
	v_cndmask_b32_e64 v10, 0, -1, s[0:1]
	v_cmp_le_u32_e64 s[0:1], s16, v9
	v_cndmask_b32_e64 v9, 0, -1, s[0:1]
	v_cmp_eq_u32_e64 s[0:1], s17, v6
	v_cndmask_b32_e64 v6, v10, v9, s[0:1]
	v_add_co_u32_e64 v9, s[0:1], 2, v4
	v_subb_co_u32_e32 v3, vcc, v7, v3, vcc
	v_addc_co_u32_e64 v10, s[0:1], 0, v5, s[0:1]
	v_cmp_le_u32_e32 vcc, s17, v3
	v_add_co_u32_e64 v11, s[0:1], 1, v4
	v_cndmask_b32_e64 v7, 0, -1, vcc
	v_cmp_le_u32_e32 vcc, s16, v2
	v_addc_co_u32_e64 v12, s[0:1], 0, v5, s[0:1]
	v_cndmask_b32_e64 v2, 0, -1, vcc
	v_cmp_eq_u32_e32 vcc, s17, v3
	v_cmp_ne_u32_e64 s[0:1], 0, v6
	v_cndmask_b32_e32 v2, v7, v2, vcc
	v_cndmask_b32_e64 v6, v12, v10, s[0:1]
	v_cmp_ne_u32_e32 vcc, 0, v2
	v_cndmask_b32_e64 v3, v11, v9, s[0:1]
	v_cndmask_b32_e32 v2, v5, v6, vcc
	v_cndmask_b32_e32 v3, v4, v3, vcc
	v_xor_b32_e32 v5, s14, v8
	v_xor_b32_e32 v3, v3, v5
	;; [unrolled: 1-line block ×3, first 2 shown]
	v_sub_co_u32_e32 v4, vcc, v3, v5
	v_subb_co_u32_e32 v5, vcc, v2, v5, vcc
.LBB45_3:
	s_andn2_saveexec_b64 s[0:1], s[12:13]
	s_cbranch_execz .LBB45_5
; %bb.4:
	v_cvt_f32_u32_e32 v2, s10
	s_sub_i32 s12, 0, s10
	v_rcp_iflag_f32_e32 v2, v2
	v_mul_f32_e32 v2, 0x4f7ffffe, v2
	v_cvt_u32_f32_e32 v2, v2
	v_mul_lo_u32 v3, s12, v2
	v_mul_hi_u32 v3, v2, v3
	v_add_u32_e32 v2, v2, v3
	v_mul_hi_u32 v2, v0, v2
	v_mul_lo_u32 v3, v2, s10
	v_add_u32_e32 v4, 1, v2
	v_sub_u32_e32 v3, v0, v3
	v_subrev_u32_e32 v5, s10, v3
	v_cmp_le_u32_e32 vcc, s10, v3
	v_cndmask_b32_e32 v3, v3, v5, vcc
	v_cndmask_b32_e32 v2, v2, v4, vcc
	v_add_u32_e32 v4, 1, v2
	v_cmp_le_u32_e32 vcc, s10, v3
	v_cndmask_b32_e32 v4, v2, v4, vcc
	v_mov_b32_e32 v5, 0
.LBB45_5:
	s_or_b64 exec, exec, s[0:1]
	v_or_b32_e32 v3, s3, v5
	v_mov_b32_e32 v2, 0
	v_cmp_ne_u64_e32 vcc, 0, v[2:3]
                                        ; implicit-def: $vgpr2_vgpr3
	s_and_saveexec_b64 s[0:1], vcc
	s_xor_b64 s[12:13], exec, s[0:1]
	s_cbranch_execz .LBB45_7
; %bb.6:
	s_ashr_i32 s0, s3, 31
	s_add_u32 s14, s2, s0
	s_mov_b32 s1, s0
	s_addc_u32 s15, s3, s0
	s_xor_b64 s[14:15], s[14:15], s[0:1]
	v_cvt_f32_u32_e32 v2, s14
	v_cvt_f32_u32_e32 v3, s15
	s_sub_u32 s3, 0, s14
	s_subb_u32 s16, 0, s15
	v_ashrrev_i32_e32 v9, 31, v5
	v_madmk_f32 v2, v3, 0x4f800000, v2
	v_rcp_f32_e32 v2, v2
	v_mul_f32_e32 v2, 0x5f7ffffc, v2
	v_mul_f32_e32 v3, 0x2f800000, v2
	v_trunc_f32_e32 v3, v3
	v_madmk_f32 v2, v3, 0xcf800000, v2
	v_cvt_u32_f32_e32 v3, v3
	v_cvt_u32_f32_e32 v2, v2
	v_readfirstlane_b32 s17, v3
	v_readfirstlane_b32 s0, v2
	s_mul_i32 s1, s3, s17
	s_mul_hi_u32 s19, s3, s0
	s_mul_i32 s18, s16, s0
	s_add_i32 s1, s19, s1
	s_add_i32 s1, s1, s18
	s_mul_i32 s20, s3, s0
	s_mul_i32 s19, s0, s1
	s_mul_hi_u32 s21, s0, s20
	s_mul_hi_u32 s18, s0, s1
	s_add_u32 s19, s21, s19
	s_addc_u32 s18, 0, s18
	s_mul_hi_u32 s22, s17, s20
	s_mul_i32 s20, s17, s20
	s_add_u32 s19, s19, s20
	s_mul_hi_u32 s21, s17, s1
	s_addc_u32 s18, s18, s22
	s_addc_u32 s19, s21, 0
	s_mul_i32 s1, s17, s1
	s_add_u32 s1, s18, s1
	s_addc_u32 s18, 0, s19
	s_add_u32 s19, s0, s1
	s_cselect_b64 s[0:1], -1, 0
	s_cmp_lg_u64 s[0:1], 0
	s_addc_u32 s17, s17, s18
	s_mul_i32 s0, s3, s17
	s_mul_hi_u32 s1, s3, s19
	s_add_i32 s0, s1, s0
	s_mul_i32 s16, s16, s19
	s_add_i32 s0, s0, s16
	s_mul_i32 s3, s3, s19
	s_mul_hi_u32 s16, s17, s3
	s_mul_i32 s18, s17, s3
	s_mul_i32 s21, s19, s0
	s_mul_hi_u32 s3, s19, s3
	s_mul_hi_u32 s20, s19, s0
	s_add_u32 s3, s3, s21
	s_addc_u32 s20, 0, s20
	s_add_u32 s3, s3, s18
	s_mul_hi_u32 s1, s17, s0
	s_addc_u32 s3, s20, s16
	s_addc_u32 s1, s1, 0
	s_mul_i32 s0, s17, s0
	s_add_u32 s0, s3, s0
	s_addc_u32 s3, 0, s1
	s_add_u32 s16, s19, s0
	s_cselect_b64 s[0:1], -1, 0
	s_cmp_lg_u64 s[0:1], 0
	v_add_co_u32_e32 v2, vcc, v4, v9
	s_addc_u32 s3, s17, s3
	v_xor_b32_e32 v10, v2, v9
	v_mad_u64_u32 v[2:3], s[0:1], v10, s3, 0
	v_mul_hi_u32 v7, v10, s16
	v_addc_co_u32_e32 v6, vcc, v5, v9, vcc
	v_xor_b32_e32 v11, v6, v9
	v_add_co_u32_e32 v12, vcc, v7, v2
	v_addc_co_u32_e32 v13, vcc, 0, v3, vcc
	v_mad_u64_u32 v[2:3], s[0:1], v11, s16, 0
	v_mad_u64_u32 v[6:7], s[0:1], v11, s3, 0
	v_add_co_u32_e32 v2, vcc, v12, v2
	v_addc_co_u32_e32 v2, vcc, v13, v3, vcc
	v_addc_co_u32_e32 v3, vcc, 0, v7, vcc
	v_add_co_u32_e32 v2, vcc, v2, v6
	v_addc_co_u32_e32 v3, vcc, 0, v3, vcc
	v_mul_lo_u32 v6, s15, v2
	v_mul_lo_u32 v7, s14, v3
	v_mad_u64_u32 v[2:3], s[0:1], s14, v2, 0
	v_add3_u32 v3, v3, v7, v6
	v_sub_u32_e32 v6, v11, v3
	v_mov_b32_e32 v7, s15
	v_sub_co_u32_e32 v2, vcc, v10, v2
	v_subb_co_u32_e64 v6, s[0:1], v6, v7, vcc
	v_subrev_co_u32_e64 v7, s[0:1], s14, v2
	v_subbrev_co_u32_e64 v6, s[0:1], 0, v6, s[0:1]
	v_cmp_le_u32_e64 s[0:1], s15, v6
	v_subb_co_u32_e32 v3, vcc, v11, v3, vcc
	v_cndmask_b32_e64 v10, 0, -1, s[0:1]
	v_cmp_le_u32_e64 s[0:1], s14, v7
	v_cmp_le_u32_e32 vcc, s15, v3
	v_cndmask_b32_e64 v12, 0, -1, s[0:1]
	v_cmp_eq_u32_e64 s[0:1], s15, v6
	v_cndmask_b32_e64 v11, 0, -1, vcc
	v_cmp_le_u32_e32 vcc, s14, v2
	v_cndmask_b32_e64 v6, v10, v12, s[0:1]
	v_cndmask_b32_e64 v12, 0, -1, vcc
	v_cmp_eq_u32_e32 vcc, s15, v3
	v_subrev_co_u32_e64 v10, s[0:1], s14, v7
	v_cndmask_b32_e32 v3, v11, v12, vcc
	v_cmp_ne_u32_e32 vcc, 0, v6
	v_cndmask_b32_e32 v6, v7, v10, vcc
	v_cmp_ne_u32_e32 vcc, 0, v3
	v_cndmask_b32_e32 v2, v2, v6, vcc
	v_xor_b32_e32 v2, v2, v9
	v_sub_co_u32_e32 v2, vcc, v2, v9
.LBB45_7:
	s_andn2_saveexec_b64 s[0:1], s[12:13]
	s_cbranch_execz .LBB45_9
; %bb.8:
	v_cvt_f32_u32_e32 v2, s2
	s_sub_i32 s3, 0, s2
	v_rcp_iflag_f32_e32 v2, v2
	v_mul_f32_e32 v2, 0x4f7ffffe, v2
	v_cvt_u32_f32_e32 v2, v2
	v_mul_lo_u32 v3, s3, v2
	v_mul_hi_u32 v3, v2, v3
	v_add_u32_e32 v2, v2, v3
	v_mul_hi_u32 v2, v4, v2
	v_mul_lo_u32 v2, v2, s2
	v_sub_u32_e32 v2, v4, v2
	v_subrev_u32_e32 v3, s2, v2
	v_cmp_le_u32_e32 vcc, s2, v2
	v_cndmask_b32_e32 v2, v2, v3, vcc
	v_subrev_u32_e32 v3, s2, v2
	v_cmp_le_u32_e32 vcc, s2, v2
	v_cndmask_b32_e32 v2, v2, v3, vcc
.LBB45_9:
	s_or_b64 exec, exec, s[0:1]
	v_or_b32_e32 v7, s9, v1
	v_mov_b32_e32 v6, 0
	v_cmp_ne_u64_e32 vcc, 0, v[6:7]
                                        ; implicit-def: $vgpr6_vgpr7
	s_and_saveexec_b64 s[0:1], vcc
	s_xor_b64 s[2:3], exec, s[0:1]
	s_cbranch_execz .LBB45_11
; %bb.10:
	s_ashr_i32 s12, s9, 31
	s_add_u32 s0, s6, s12
	s_mov_b32 s13, s12
	s_addc_u32 s1, s9, s12
	s_xor_b64 s[14:15], s[0:1], s[12:13]
	v_cvt_f32_u32_e32 v3, s14
	v_cvt_f32_u32_e32 v6, s15
	s_sub_u32 s9, 0, s14
	s_subb_u32 s13, 0, s15
	v_madmk_f32 v3, v6, 0x4f800000, v3
	v_rcp_f32_e32 v3, v3
	v_mul_f32_e32 v3, 0x5f7ffffc, v3
	v_mul_f32_e32 v6, 0x2f800000, v3
	v_trunc_f32_e32 v6, v6
	v_madmk_f32 v3, v6, 0xcf800000, v3
	v_cvt_u32_f32_e32 v6, v6
	v_cvt_u32_f32_e32 v3, v3
	v_readfirstlane_b32 s16, v6
	v_readfirstlane_b32 s0, v3
	s_mul_i32 s1, s9, s16
	s_mul_hi_u32 s18, s9, s0
	s_mul_i32 s17, s13, s0
	s_add_i32 s1, s18, s1
	s_add_i32 s1, s1, s17
	s_mul_i32 s19, s9, s0
	s_mul_i32 s18, s0, s1
	s_mul_hi_u32 s20, s0, s19
	s_mul_hi_u32 s17, s0, s1
	s_add_u32 s18, s20, s18
	s_addc_u32 s17, 0, s17
	s_mul_hi_u32 s21, s16, s19
	s_mul_i32 s19, s16, s19
	s_add_u32 s18, s18, s19
	s_mul_hi_u32 s20, s16, s1
	s_addc_u32 s17, s17, s21
	s_addc_u32 s18, s20, 0
	s_mul_i32 s1, s16, s1
	s_add_u32 s1, s17, s1
	s_addc_u32 s17, 0, s18
	s_add_u32 s18, s0, s1
	s_cselect_b64 s[0:1], -1, 0
	s_cmp_lg_u64 s[0:1], 0
	s_addc_u32 s16, s16, s17
	s_mul_i32 s0, s9, s16
	s_mul_hi_u32 s1, s9, s18
	s_add_i32 s0, s1, s0
	s_mul_i32 s13, s13, s18
	s_add_i32 s0, s0, s13
	s_mul_i32 s9, s9, s18
	s_mul_hi_u32 s13, s16, s9
	s_mul_i32 s17, s16, s9
	s_mul_i32 s20, s18, s0
	s_mul_hi_u32 s9, s18, s9
	s_mul_hi_u32 s19, s18, s0
	s_add_u32 s9, s9, s20
	s_addc_u32 s19, 0, s19
	s_add_u32 s9, s9, s17
	s_mul_hi_u32 s1, s16, s0
	s_addc_u32 s9, s19, s13
	s_addc_u32 s1, s1, 0
	s_mul_i32 s0, s16, s0
	s_add_u32 s0, s9, s0
	s_addc_u32 s9, 0, s1
	s_add_u32 s13, s18, s0
	s_cselect_b64 s[0:1], -1, 0
	s_cmp_lg_u64 s[0:1], 0
	v_add_co_u32_e32 v3, vcc, v0, v8
	s_addc_u32 s9, s16, s9
	v_xor_b32_e32 v3, v3, v8
	v_mad_u64_u32 v[6:7], s[0:1], v3, s9, 0
	v_mul_hi_u32 v10, v3, s13
	v_addc_co_u32_e32 v9, vcc, v1, v8, vcc
	v_xor_b32_e32 v11, v9, v8
	v_add_co_u32_e32 v12, vcc, v10, v6
	v_addc_co_u32_e32 v13, vcc, 0, v7, vcc
	v_mad_u64_u32 v[6:7], s[0:1], v11, s13, 0
	v_mad_u64_u32 v[9:10], s[0:1], v11, s9, 0
	v_add_co_u32_e32 v6, vcc, v12, v6
	v_addc_co_u32_e32 v6, vcc, v13, v7, vcc
	v_addc_co_u32_e32 v7, vcc, 0, v10, vcc
	v_add_co_u32_e32 v9, vcc, v6, v9
	v_addc_co_u32_e32 v6, vcc, 0, v7, vcc
	v_mul_lo_u32 v10, s15, v9
	v_mul_lo_u32 v12, s14, v6
	v_mad_u64_u32 v[6:7], s[0:1], s14, v9, 0
	v_add3_u32 v7, v7, v12, v10
	v_sub_u32_e32 v10, v11, v7
	v_mov_b32_e32 v12, s15
	v_sub_co_u32_e32 v3, vcc, v3, v6
	v_subb_co_u32_e64 v6, s[0:1], v10, v12, vcc
	v_subrev_co_u32_e64 v10, s[0:1], s14, v3
	v_subbrev_co_u32_e64 v6, s[0:1], 0, v6, s[0:1]
	v_cmp_le_u32_e64 s[0:1], s15, v6
	v_subb_co_u32_e32 v7, vcc, v11, v7, vcc
	v_cndmask_b32_e64 v12, 0, -1, s[0:1]
	v_cmp_le_u32_e64 s[0:1], s14, v10
	v_cmp_le_u32_e32 vcc, s15, v7
	v_cndmask_b32_e64 v10, 0, -1, s[0:1]
	v_cmp_eq_u32_e64 s[0:1], s15, v6
	v_cndmask_b32_e64 v11, 0, -1, vcc
	v_cmp_le_u32_e32 vcc, s14, v3
	v_cndmask_b32_e64 v6, v12, v10, s[0:1]
	v_cndmask_b32_e64 v3, 0, -1, vcc
	v_cmp_eq_u32_e32 vcc, s15, v7
	v_add_co_u32_e64 v10, s[0:1], 2, v9
	v_add_co_u32_e64 v12, s[0:1], 1, v9
	v_cndmask_b32_e32 v3, v11, v3, vcc
	v_cmp_ne_u32_e32 vcc, 0, v6
	v_cndmask_b32_e32 v6, v12, v10, vcc
	v_cmp_ne_u32_e32 vcc, 0, v3
	v_cndmask_b32_e32 v3, v9, v6, vcc
	v_xor_b32_e32 v6, s12, v8
	v_xor_b32_e32 v3, v3, v6
	v_sub_co_u32_e32 v6, vcc, v3, v6
.LBB45_11:
	s_andn2_saveexec_b64 s[0:1], s[2:3]
	s_cbranch_execz .LBB45_13
; %bb.12:
	v_cvt_f32_u32_e32 v3, s6
	s_sub_i32 s2, 0, s6
	v_rcp_iflag_f32_e32 v3, v3
	v_mul_f32_e32 v3, 0x4f7ffffe, v3
	v_cvt_u32_f32_e32 v3, v3
	v_mul_lo_u32 v6, s2, v3
	v_mul_hi_u32 v6, v3, v6
	v_add_u32_e32 v3, v3, v6
	v_mul_hi_u32 v3, v0, v3
	v_mul_lo_u32 v6, v3, s6
	v_add_u32_e32 v7, 1, v3
	v_sub_u32_e32 v6, v0, v6
	v_subrev_u32_e32 v8, s6, v6
	v_cmp_le_u32_e32 vcc, s6, v6
	v_cndmask_b32_e32 v6, v6, v8, vcc
	v_cndmask_b32_e32 v3, v3, v7, vcc
	v_add_u32_e32 v7, 1, v3
	v_cmp_le_u32_e32 vcc, s6, v6
	v_cndmask_b32_e32 v6, v3, v7, vcc
.LBB45_13:
	s_or_b64 exec, exec, s[0:1]
	v_mul_lo_u32 v7, v4, s11
	v_mad_u64_u32 v[3:4], s[0:1], v4, s10, 0
	s_load_dwordx4 s[0:3], s[4:5], 0xb0
	s_load_dword s6, s[4:5], 0xc0
	v_mul_lo_u32 v5, v5, s10
	v_sub_co_u32_e32 v0, vcc, v0, v3
	s_waitcnt lgkmcnt(0)
	s_add_i32 s27, s3, s7
	s_add_i32 s26, s6, s8
	s_load_dwordx16 s[8:23], s[4:5], 0x18
	s_sub_i32 s3, 0, s2
	s_max_i32 s30, s2, 0
	v_max_i32_e32 v3, s2, v0
	s_max_i32 s3, s3, 0
	s_waitcnt lgkmcnt(0)
	s_add_i32 s2, s2, s12
	s_add_i32 s2, s2, -1
	v_min_i32_e32 v3, s2, v3
	s_sub_i32 s2, s3, s30
	v_add3_u32 v4, v4, v7, v5
	s_sub_i32 s6, 0, s1
	s_max_i32 s9, s1, 0
	v_add_u32_e32 v5, s2, v3
	v_max_i32_e32 v3, s1, v2
	s_add_i32 s1, s1, s10
	s_max_i32 s28, s6, 0
	s_add_i32 s1, s1, -1
	v_min_i32_e32 v3, s1, v3
	s_sub_i32 s1, s28, s9
	s_sub_i32 s6, 0, s0
	s_max_i32 s11, s0, 0
	v_add_u32_e32 v7, s1, v3
	v_max_i32_e32 v3, s0, v6
	s_add_i32 s0, s0, s8
	s_max_i32 s29, s6, 0
	s_add_i32 s0, s0, -1
	s_load_dwordx2 s[6:7], s[4:5], 0x0
	v_min_i32_e32 v3, s0, v3
	s_sub_i32 s0, s29, s11
	s_ashr_i32 s28, s26, 31
	v_add_u32_e32 v3, s0, v3
	s_mul_i32 s0, s14, s28
	s_mul_hi_u32 s1, s14, s26
	s_add_i32 s0, s1, s0
	s_mul_i32 s1, s15, s26
	s_add_i32 s1, s0, s1
	s_mul_i32 s0, s14, s26
	s_lshl_b64 s[0:1], s[0:1], 3
	s_waitcnt lgkmcnt(0)
	s_add_u32 s6, s6, s0
	s_addc_u32 s7, s7, s1
	s_ashr_i32 s29, s27, 31
	v_subb_co_u32_e32 v1, vcc, v1, v4, vcc
	s_mul_i32 s0, s16, s29
	s_mul_hi_u32 s1, s16, s27
	v_ashrrev_i32_e32 v4, 31, v3
	s_add_i32 s0, s1, s0
	s_mul_i32 s1, s17, s27
	v_mul_lo_u32 v8, s18, v4
	v_mul_lo_u32 v9, s19, v3
	v_mad_u64_u32 v[3:4], s[2:3], s18, v3, 0
	s_add_i32 s1, s0, s1
	s_mul_i32 s0, s16, s27
	s_lshl_b64 s[0:1], s[0:1], 3
	s_add_u32 s2, s6, s0
	s_addc_u32 s0, s7, s1
	v_add3_u32 v4, v4, v8, v9
	v_ashrrev_i32_e32 v8, 31, v7
	v_mov_b32_e32 v9, s0
	v_mul_lo_u32 v10, s20, v8
	v_mul_lo_u32 v11, s21, v7
	v_mad_u64_u32 v[7:8], s[0:1], s20, v7, 0
	v_lshlrev_b64 v[3:4], 3, v[3:4]
	s_load_dwordx2 s[24:25], s[4:5], 0xa8
	v_add_co_u32_e32 v12, vcc, s2, v3
	v_add3_u32 v8, v8, v10, v11
	v_addc_co_u32_e32 v9, vcc, v9, v4, vcc
	v_lshlrev_b64 v[3:4], 3, v[7:8]
	v_ashrrev_i32_e32 v7, 31, v5
	v_mul_lo_u32 v10, s22, v7
	v_mul_lo_u32 v11, s23, v5
	v_mad_u64_u32 v[7:8], s[0:1], s22, v5, 0
	v_add_co_u32_e32 v5, vcc, v12, v3
	v_add3_u32 v8, v8, v10, v11
	v_addc_co_u32_e32 v9, vcc, v9, v4, vcc
	v_lshlrev_b64 v[3:4], 3, v[7:8]
	v_add_co_u32_e32 v3, vcc, v5, v3
	v_addc_co_u32_e32 v4, vcc, v9, v4, vcc
	global_load_dwordx2 v[3:4], v[3:4], off
	s_load_dwordx8 s[8:15], s[4:5], 0x88
	s_load_dwordx2 s[0:1], s[4:5], 0x58
	v_ashrrev_i32_e32 v5, 31, v6
	s_waitcnt lgkmcnt(0)
	s_mul_i32 s2, s8, s28
	s_mul_hi_u32 s3, s8, s26
	s_add_i32 s2, s3, s2
	s_mul_i32 s3, s9, s26
	s_add_i32 s3, s2, s3
	s_mul_i32 s2, s8, s26
	s_lshl_b64 s[2:3], s[2:3], 3
	s_add_u32 s4, s0, s2
	s_addc_u32 s5, s1, s3
	s_mul_i32 s0, s10, s29
	s_mul_hi_u32 s1, s10, s27
	s_add_i32 s0, s1, s0
	s_mul_i32 s1, s11, s27
	v_mul_lo_u32 v7, s13, v6
	v_mul_lo_u32 v8, s12, v5
	v_mad_u64_u32 v[5:6], s[2:3], s12, v6, 0
	s_add_i32 s1, s0, s1
	s_mul_i32 s0, s10, s27
	s_lshl_b64 s[0:1], s[0:1], 3
	s_add_u32 s2, s4, s0
	s_addc_u32 s0, s5, s1
	v_add3_u32 v6, v6, v8, v7
	v_ashrrev_i32_e32 v7, 31, v2
	v_mov_b32_e32 v9, s0
	v_mul_lo_u32 v10, s15, v2
	v_mul_lo_u32 v11, s14, v7
	v_mad_u64_u32 v[7:8], s[0:1], s14, v2, 0
	v_lshlrev_b64 v[5:6], 3, v[5:6]
	v_add_co_u32_e32 v2, vcc, s2, v5
	v_add3_u32 v8, v8, v11, v10
	v_addc_co_u32_e32 v9, vcc, v9, v6, vcc
	v_lshlrev_b64 v[5:6], 3, v[7:8]
	v_mul_lo_u32 v7, s25, v0
	v_mul_lo_u32 v8, s24, v1
	v_mad_u64_u32 v[0:1], s[0:1], s24, v0, 0
	v_add_co_u32_e32 v2, vcc, v2, v5
	v_add3_u32 v1, v1, v8, v7
	v_lshlrev_b64 v[0:1], 3, v[0:1]
	v_addc_co_u32_e32 v5, vcc, v9, v6, vcc
	v_add_co_u32_e32 v0, vcc, v2, v0
	v_addc_co_u32_e32 v1, vcc, v5, v1, vcc
	s_waitcnt vmcnt(0)
	global_store_dwordx2 v[0:1], v[3:4], off
.LBB45_14:
	s_endpgm
	.section	.rodata,"a",@progbits
	.p2align	6, 0x0
	.amdhsa_kernel _ZN2at6native12_GLOBAL__N_132replication_pad_forward_kernel3dIdEEvN5torch10headeronly6detail27GenericPackedTensorAccessorINS5_14TensorAccessorIN3c108ArrayRefIlEEKT_Lm4ENS4_16DefaultPtrTraitsElEENS_6detail16IndexBoundsCheckILm5ElEESC_Lm5ESD_lEENS6_INS7_ISA_SB_Lm4ESD_lEESH_SB_Lm5ESD_lEEiiiii
		.amdhsa_group_segment_fixed_size 0
		.amdhsa_private_segment_fixed_size 0
		.amdhsa_kernarg_size 456
		.amdhsa_user_sgpr_count 6
		.amdhsa_user_sgpr_private_segment_buffer 1
		.amdhsa_user_sgpr_dispatch_ptr 0
		.amdhsa_user_sgpr_queue_ptr 0
		.amdhsa_user_sgpr_kernarg_segment_ptr 1
		.amdhsa_user_sgpr_dispatch_id 0
		.amdhsa_user_sgpr_flat_scratch_init 0
		.amdhsa_user_sgpr_private_segment_size 0
		.amdhsa_uses_dynamic_stack 0
		.amdhsa_system_sgpr_private_segment_wavefront_offset 0
		.amdhsa_system_sgpr_workgroup_id_x 1
		.amdhsa_system_sgpr_workgroup_id_y 1
		.amdhsa_system_sgpr_workgroup_id_z 1
		.amdhsa_system_sgpr_workgroup_info 0
		.amdhsa_system_vgpr_workitem_id 0
		.amdhsa_next_free_vgpr 14
		.amdhsa_next_free_sgpr 31
		.amdhsa_reserve_vcc 1
		.amdhsa_reserve_flat_scratch 0
		.amdhsa_float_round_mode_32 0
		.amdhsa_float_round_mode_16_64 0
		.amdhsa_float_denorm_mode_32 3
		.amdhsa_float_denorm_mode_16_64 3
		.amdhsa_dx10_clamp 1
		.amdhsa_ieee_mode 1
		.amdhsa_fp16_overflow 0
		.amdhsa_exception_fp_ieee_invalid_op 0
		.amdhsa_exception_fp_denorm_src 0
		.amdhsa_exception_fp_ieee_div_zero 0
		.amdhsa_exception_fp_ieee_overflow 0
		.amdhsa_exception_fp_ieee_underflow 0
		.amdhsa_exception_fp_ieee_inexact 0
		.amdhsa_exception_int_div_zero 0
	.end_amdhsa_kernel
	.section	.text._ZN2at6native12_GLOBAL__N_132replication_pad_forward_kernel3dIdEEvN5torch10headeronly6detail27GenericPackedTensorAccessorINS5_14TensorAccessorIN3c108ArrayRefIlEEKT_Lm4ENS4_16DefaultPtrTraitsElEENS_6detail16IndexBoundsCheckILm5ElEESC_Lm5ESD_lEENS6_INS7_ISA_SB_Lm4ESD_lEESH_SB_Lm5ESD_lEEiiiii,"axG",@progbits,_ZN2at6native12_GLOBAL__N_132replication_pad_forward_kernel3dIdEEvN5torch10headeronly6detail27GenericPackedTensorAccessorINS5_14TensorAccessorIN3c108ArrayRefIlEEKT_Lm4ENS4_16DefaultPtrTraitsElEENS_6detail16IndexBoundsCheckILm5ElEESC_Lm5ESD_lEENS6_INS7_ISA_SB_Lm4ESD_lEESH_SB_Lm5ESD_lEEiiiii,comdat
.Lfunc_end45:
	.size	_ZN2at6native12_GLOBAL__N_132replication_pad_forward_kernel3dIdEEvN5torch10headeronly6detail27GenericPackedTensorAccessorINS5_14TensorAccessorIN3c108ArrayRefIlEEKT_Lm4ENS4_16DefaultPtrTraitsElEENS_6detail16IndexBoundsCheckILm5ElEESC_Lm5ESD_lEENS6_INS7_ISA_SB_Lm4ESD_lEESH_SB_Lm5ESD_lEEiiiii, .Lfunc_end45-_ZN2at6native12_GLOBAL__N_132replication_pad_forward_kernel3dIdEEvN5torch10headeronly6detail27GenericPackedTensorAccessorINS5_14TensorAccessorIN3c108ArrayRefIlEEKT_Lm4ENS4_16DefaultPtrTraitsElEENS_6detail16IndexBoundsCheckILm5ElEESC_Lm5ESD_lEENS6_INS7_ISA_SB_Lm4ESD_lEESH_SB_Lm5ESD_lEEiiiii
                                        ; -- End function
	.set _ZN2at6native12_GLOBAL__N_132replication_pad_forward_kernel3dIdEEvN5torch10headeronly6detail27GenericPackedTensorAccessorINS5_14TensorAccessorIN3c108ArrayRefIlEEKT_Lm4ENS4_16DefaultPtrTraitsElEENS_6detail16IndexBoundsCheckILm5ElEESC_Lm5ESD_lEENS6_INS7_ISA_SB_Lm4ESD_lEESH_SB_Lm5ESD_lEEiiiii.num_vgpr, 14
	.set _ZN2at6native12_GLOBAL__N_132replication_pad_forward_kernel3dIdEEvN5torch10headeronly6detail27GenericPackedTensorAccessorINS5_14TensorAccessorIN3c108ArrayRefIlEEKT_Lm4ENS4_16DefaultPtrTraitsElEENS_6detail16IndexBoundsCheckILm5ElEESC_Lm5ESD_lEENS6_INS7_ISA_SB_Lm4ESD_lEESH_SB_Lm5ESD_lEEiiiii.num_agpr, 0
	.set _ZN2at6native12_GLOBAL__N_132replication_pad_forward_kernel3dIdEEvN5torch10headeronly6detail27GenericPackedTensorAccessorINS5_14TensorAccessorIN3c108ArrayRefIlEEKT_Lm4ENS4_16DefaultPtrTraitsElEENS_6detail16IndexBoundsCheckILm5ElEESC_Lm5ESD_lEENS6_INS7_ISA_SB_Lm4ESD_lEESH_SB_Lm5ESD_lEEiiiii.numbered_sgpr, 31
	.set _ZN2at6native12_GLOBAL__N_132replication_pad_forward_kernel3dIdEEvN5torch10headeronly6detail27GenericPackedTensorAccessorINS5_14TensorAccessorIN3c108ArrayRefIlEEKT_Lm4ENS4_16DefaultPtrTraitsElEENS_6detail16IndexBoundsCheckILm5ElEESC_Lm5ESD_lEENS6_INS7_ISA_SB_Lm4ESD_lEESH_SB_Lm5ESD_lEEiiiii.num_named_barrier, 0
	.set _ZN2at6native12_GLOBAL__N_132replication_pad_forward_kernel3dIdEEvN5torch10headeronly6detail27GenericPackedTensorAccessorINS5_14TensorAccessorIN3c108ArrayRefIlEEKT_Lm4ENS4_16DefaultPtrTraitsElEENS_6detail16IndexBoundsCheckILm5ElEESC_Lm5ESD_lEENS6_INS7_ISA_SB_Lm4ESD_lEESH_SB_Lm5ESD_lEEiiiii.private_seg_size, 0
	.set _ZN2at6native12_GLOBAL__N_132replication_pad_forward_kernel3dIdEEvN5torch10headeronly6detail27GenericPackedTensorAccessorINS5_14TensorAccessorIN3c108ArrayRefIlEEKT_Lm4ENS4_16DefaultPtrTraitsElEENS_6detail16IndexBoundsCheckILm5ElEESC_Lm5ESD_lEENS6_INS7_ISA_SB_Lm4ESD_lEESH_SB_Lm5ESD_lEEiiiii.uses_vcc, 1
	.set _ZN2at6native12_GLOBAL__N_132replication_pad_forward_kernel3dIdEEvN5torch10headeronly6detail27GenericPackedTensorAccessorINS5_14TensorAccessorIN3c108ArrayRefIlEEKT_Lm4ENS4_16DefaultPtrTraitsElEENS_6detail16IndexBoundsCheckILm5ElEESC_Lm5ESD_lEENS6_INS7_ISA_SB_Lm4ESD_lEESH_SB_Lm5ESD_lEEiiiii.uses_flat_scratch, 0
	.set _ZN2at6native12_GLOBAL__N_132replication_pad_forward_kernel3dIdEEvN5torch10headeronly6detail27GenericPackedTensorAccessorINS5_14TensorAccessorIN3c108ArrayRefIlEEKT_Lm4ENS4_16DefaultPtrTraitsElEENS_6detail16IndexBoundsCheckILm5ElEESC_Lm5ESD_lEENS6_INS7_ISA_SB_Lm4ESD_lEESH_SB_Lm5ESD_lEEiiiii.has_dyn_sized_stack, 0
	.set _ZN2at6native12_GLOBAL__N_132replication_pad_forward_kernel3dIdEEvN5torch10headeronly6detail27GenericPackedTensorAccessorINS5_14TensorAccessorIN3c108ArrayRefIlEEKT_Lm4ENS4_16DefaultPtrTraitsElEENS_6detail16IndexBoundsCheckILm5ElEESC_Lm5ESD_lEENS6_INS7_ISA_SB_Lm4ESD_lEESH_SB_Lm5ESD_lEEiiiii.has_recursion, 0
	.set _ZN2at6native12_GLOBAL__N_132replication_pad_forward_kernel3dIdEEvN5torch10headeronly6detail27GenericPackedTensorAccessorINS5_14TensorAccessorIN3c108ArrayRefIlEEKT_Lm4ENS4_16DefaultPtrTraitsElEENS_6detail16IndexBoundsCheckILm5ElEESC_Lm5ESD_lEENS6_INS7_ISA_SB_Lm4ESD_lEESH_SB_Lm5ESD_lEEiiiii.has_indirect_call, 0
	.section	.AMDGPU.csdata,"",@progbits
; Kernel info:
; codeLenInByte = 2952
; TotalNumSgprs: 35
; NumVgprs: 14
; ScratchSize: 0
; MemoryBound: 0
; FloatMode: 240
; IeeeMode: 1
; LDSByteSize: 0 bytes/workgroup (compile time only)
; SGPRBlocks: 4
; VGPRBlocks: 3
; NumSGPRsForWavesPerEU: 35
; NumVGPRsForWavesPerEU: 14
; Occupancy: 10
; WaveLimiterHint : 1
; COMPUTE_PGM_RSRC2:SCRATCH_EN: 0
; COMPUTE_PGM_RSRC2:USER_SGPR: 6
; COMPUTE_PGM_RSRC2:TRAP_HANDLER: 0
; COMPUTE_PGM_RSRC2:TGID_X_EN: 1
; COMPUTE_PGM_RSRC2:TGID_Y_EN: 1
; COMPUTE_PGM_RSRC2:TGID_Z_EN: 1
; COMPUTE_PGM_RSRC2:TIDIG_COMP_CNT: 0
	.section	.text._ZN2at6native12_GLOBAL__N_132replication_pad_forward_kernel3dIfEEvN5torch10headeronly6detail27GenericPackedTensorAccessorINS5_14TensorAccessorIN3c108ArrayRefIlEEKT_Lm4ENS4_16DefaultPtrTraitsElEENS_6detail16IndexBoundsCheckILm5ElEESC_Lm5ESD_lEENS6_INS7_ISA_SB_Lm4ESD_lEESH_SB_Lm5ESD_lEEiiiii,"axG",@progbits,_ZN2at6native12_GLOBAL__N_132replication_pad_forward_kernel3dIfEEvN5torch10headeronly6detail27GenericPackedTensorAccessorINS5_14TensorAccessorIN3c108ArrayRefIlEEKT_Lm4ENS4_16DefaultPtrTraitsElEENS_6detail16IndexBoundsCheckILm5ElEESC_Lm5ESD_lEENS6_INS7_ISA_SB_Lm4ESD_lEESH_SB_Lm5ESD_lEEiiiii,comdat
	.globl	_ZN2at6native12_GLOBAL__N_132replication_pad_forward_kernel3dIfEEvN5torch10headeronly6detail27GenericPackedTensorAccessorINS5_14TensorAccessorIN3c108ArrayRefIlEEKT_Lm4ENS4_16DefaultPtrTraitsElEENS_6detail16IndexBoundsCheckILm5ElEESC_Lm5ESD_lEENS6_INS7_ISA_SB_Lm4ESD_lEESH_SB_Lm5ESD_lEEiiiii ; -- Begin function _ZN2at6native12_GLOBAL__N_132replication_pad_forward_kernel3dIfEEvN5torch10headeronly6detail27GenericPackedTensorAccessorINS5_14TensorAccessorIN3c108ArrayRefIlEEKT_Lm4ENS4_16DefaultPtrTraitsElEENS_6detail16IndexBoundsCheckILm5ElEESC_Lm5ESD_lEENS6_INS7_ISA_SB_Lm4ESD_lEESH_SB_Lm5ESD_lEEiiiii
	.p2align	8
	.type	_ZN2at6native12_GLOBAL__N_132replication_pad_forward_kernel3dIfEEvN5torch10headeronly6detail27GenericPackedTensorAccessorINS5_14TensorAccessorIN3c108ArrayRefIlEEKT_Lm4ENS4_16DefaultPtrTraitsElEENS_6detail16IndexBoundsCheckILm5ElEESC_Lm5ESD_lEENS6_INS7_ISA_SB_Lm4ESD_lEESH_SB_Lm5ESD_lEEiiiii,@function
_ZN2at6native12_GLOBAL__N_132replication_pad_forward_kernel3dIfEEvN5torch10headeronly6detail27GenericPackedTensorAccessorINS5_14TensorAccessorIN3c108ArrayRefIlEEKT_Lm4ENS4_16DefaultPtrTraitsElEENS_6detail16IndexBoundsCheckILm5ElEESC_Lm5ESD_lEENS6_INS7_ISA_SB_Lm4ESD_lEESH_SB_Lm5ESD_lEEiiiii: ; @_ZN2at6native12_GLOBAL__N_132replication_pad_forward_kernel3dIfEEvN5torch10headeronly6detail27GenericPackedTensorAccessorINS5_14TensorAccessorIN3c108ArrayRefIlEEKT_Lm4ENS4_16DefaultPtrTraitsElEENS_6detail16IndexBoundsCheckILm5ElEESC_Lm5ESD_lEENS6_INS7_ISA_SB_Lm4ESD_lEESH_SB_Lm5ESD_lEEiiiii
; %bb.0:
	s_load_dword s9, s[4:5], 0xd4
	s_load_dwordx4 s[0:3], s[4:5], 0x70
	s_load_dwordx2 s[10:11], s[4:5], 0x80
	s_waitcnt lgkmcnt(0)
	s_and_b32 s9, s9, 0xffff
	s_mul_i32 s6, s6, s9
	v_add_u32_e32 v0, s6, v0
	s_mul_i32 s6, s10, s3
	s_mul_hi_u32 s9, s10, s2
	s_add_i32 s9, s9, s6
	s_mul_i32 s6, s11, s2
	s_add_i32 s9, s9, s6
	s_mul_i32 s6, s10, s2
	s_mul_i32 s1, s6, s1
	s_mul_hi_u32 s12, s6, s0
	s_add_i32 s1, s12, s1
	s_mul_i32 s12, s9, s0
	v_ashrrev_i32_e32 v1, 31, v0
	s_add_i32 s1, s1, s12
	s_mul_i32 s0, s6, s0
	v_cmp_gt_i64_e32 vcc, s[0:1], v[0:1]
	s_and_saveexec_b64 s[0:1], vcc
	s_cbranch_execz .LBB46_14
; %bb.1:
	v_or_b32_e32 v3, s11, v1
	v_mov_b32_e32 v2, 0
	v_cmp_ne_u64_e32 vcc, 0, v[2:3]
	v_ashrrev_i32_e32 v8, 31, v1
                                        ; implicit-def: $vgpr4_vgpr5
	s_and_saveexec_b64 s[0:1], vcc
	s_xor_b64 s[12:13], exec, s[0:1]
	s_cbranch_execz .LBB46_3
; %bb.2:
	s_ashr_i32 s14, s11, 31
	s_add_u32 s0, s10, s14
	s_mov_b32 s15, s14
	s_addc_u32 s1, s11, s14
	s_xor_b64 s[16:17], s[0:1], s[14:15]
	v_cvt_f32_u32_e32 v2, s16
	v_cvt_f32_u32_e32 v3, s17
	s_sub_u32 s15, 0, s16
	s_subb_u32 s18, 0, s17
	v_madmk_f32 v2, v3, 0x4f800000, v2
	v_rcp_f32_e32 v2, v2
	v_mul_f32_e32 v2, 0x5f7ffffc, v2
	v_mul_f32_e32 v3, 0x2f800000, v2
	v_trunc_f32_e32 v3, v3
	v_madmk_f32 v2, v3, 0xcf800000, v2
	v_cvt_u32_f32_e32 v3, v3
	v_cvt_u32_f32_e32 v2, v2
	v_readfirstlane_b32 s19, v3
	v_readfirstlane_b32 s0, v2
	s_mul_i32 s1, s15, s19
	s_mul_hi_u32 s21, s15, s0
	s_mul_i32 s20, s18, s0
	s_add_i32 s1, s21, s1
	s_add_i32 s1, s1, s20
	s_mul_i32 s22, s15, s0
	s_mul_i32 s21, s0, s1
	s_mul_hi_u32 s23, s0, s22
	s_mul_hi_u32 s20, s0, s1
	s_add_u32 s21, s23, s21
	s_addc_u32 s20, 0, s20
	s_mul_hi_u32 s24, s19, s22
	s_mul_i32 s22, s19, s22
	s_add_u32 s21, s21, s22
	s_mul_hi_u32 s23, s19, s1
	s_addc_u32 s20, s20, s24
	s_addc_u32 s21, s23, 0
	s_mul_i32 s1, s19, s1
	s_add_u32 s1, s20, s1
	s_addc_u32 s20, 0, s21
	s_add_u32 s21, s0, s1
	s_cselect_b64 s[0:1], -1, 0
	s_cmp_lg_u64 s[0:1], 0
	s_addc_u32 s19, s19, s20
	s_mul_i32 s0, s15, s19
	s_mul_hi_u32 s1, s15, s21
	s_add_i32 s0, s1, s0
	s_mul_i32 s18, s18, s21
	s_add_i32 s0, s0, s18
	s_mul_i32 s15, s15, s21
	s_mul_hi_u32 s18, s19, s15
	s_mul_i32 s20, s19, s15
	s_mul_i32 s23, s21, s0
	s_mul_hi_u32 s15, s21, s15
	s_mul_hi_u32 s22, s21, s0
	s_add_u32 s15, s15, s23
	s_addc_u32 s22, 0, s22
	s_add_u32 s15, s15, s20
	s_mul_hi_u32 s1, s19, s0
	s_addc_u32 s15, s22, s18
	s_addc_u32 s1, s1, 0
	s_mul_i32 s0, s19, s0
	s_add_u32 s0, s15, s0
	s_addc_u32 s15, 0, s1
	s_add_u32 s18, s21, s0
	s_cselect_b64 s[0:1], -1, 0
	s_cmp_lg_u64 s[0:1], 0
	v_add_co_u32_e32 v2, vcc, v0, v8
	s_addc_u32 s15, s19, s15
	v_xor_b32_e32 v6, v2, v8
	v_mad_u64_u32 v[2:3], s[0:1], v6, s15, 0
	v_mul_hi_u32 v5, v6, s18
	v_addc_co_u32_e32 v4, vcc, v1, v8, vcc
	v_xor_b32_e32 v7, v4, v8
	v_add_co_u32_e32 v9, vcc, v5, v2
	v_addc_co_u32_e32 v10, vcc, 0, v3, vcc
	v_mad_u64_u32 v[2:3], s[0:1], v7, s18, 0
	v_mad_u64_u32 v[4:5], s[0:1], v7, s15, 0
	v_add_co_u32_e32 v2, vcc, v9, v2
	v_addc_co_u32_e32 v2, vcc, v10, v3, vcc
	v_addc_co_u32_e32 v3, vcc, 0, v5, vcc
	v_add_co_u32_e32 v4, vcc, v2, v4
	v_addc_co_u32_e32 v5, vcc, 0, v3, vcc
	v_mul_lo_u32 v9, s17, v4
	v_mul_lo_u32 v10, s16, v5
	v_mad_u64_u32 v[2:3], s[0:1], s16, v4, 0
	v_add3_u32 v3, v3, v10, v9
	v_sub_u32_e32 v9, v7, v3
	v_mov_b32_e32 v10, s17
	v_sub_co_u32_e32 v2, vcc, v6, v2
	v_subb_co_u32_e64 v6, s[0:1], v9, v10, vcc
	v_subrev_co_u32_e64 v9, s[0:1], s16, v2
	v_subbrev_co_u32_e64 v6, s[0:1], 0, v6, s[0:1]
	v_cmp_le_u32_e64 s[0:1], s17, v6
	v_cndmask_b32_e64 v10, 0, -1, s[0:1]
	v_cmp_le_u32_e64 s[0:1], s16, v9
	v_cndmask_b32_e64 v9, 0, -1, s[0:1]
	v_cmp_eq_u32_e64 s[0:1], s17, v6
	v_cndmask_b32_e64 v6, v10, v9, s[0:1]
	v_add_co_u32_e64 v9, s[0:1], 2, v4
	v_subb_co_u32_e32 v3, vcc, v7, v3, vcc
	v_addc_co_u32_e64 v10, s[0:1], 0, v5, s[0:1]
	v_cmp_le_u32_e32 vcc, s17, v3
	v_add_co_u32_e64 v11, s[0:1], 1, v4
	v_cndmask_b32_e64 v7, 0, -1, vcc
	v_cmp_le_u32_e32 vcc, s16, v2
	v_addc_co_u32_e64 v12, s[0:1], 0, v5, s[0:1]
	v_cndmask_b32_e64 v2, 0, -1, vcc
	v_cmp_eq_u32_e32 vcc, s17, v3
	v_cmp_ne_u32_e64 s[0:1], 0, v6
	v_cndmask_b32_e32 v2, v7, v2, vcc
	v_cndmask_b32_e64 v6, v12, v10, s[0:1]
	v_cmp_ne_u32_e32 vcc, 0, v2
	v_cndmask_b32_e64 v3, v11, v9, s[0:1]
	v_cndmask_b32_e32 v2, v5, v6, vcc
	v_cndmask_b32_e32 v3, v4, v3, vcc
	v_xor_b32_e32 v5, s14, v8
	v_xor_b32_e32 v3, v3, v5
	;; [unrolled: 1-line block ×3, first 2 shown]
	v_sub_co_u32_e32 v4, vcc, v3, v5
	v_subb_co_u32_e32 v5, vcc, v2, v5, vcc
.LBB46_3:
	s_andn2_saveexec_b64 s[0:1], s[12:13]
	s_cbranch_execz .LBB46_5
; %bb.4:
	v_cvt_f32_u32_e32 v2, s10
	s_sub_i32 s12, 0, s10
	v_rcp_iflag_f32_e32 v2, v2
	v_mul_f32_e32 v2, 0x4f7ffffe, v2
	v_cvt_u32_f32_e32 v2, v2
	v_mul_lo_u32 v3, s12, v2
	v_mul_hi_u32 v3, v2, v3
	v_add_u32_e32 v2, v2, v3
	v_mul_hi_u32 v2, v0, v2
	v_mul_lo_u32 v3, v2, s10
	v_add_u32_e32 v4, 1, v2
	v_sub_u32_e32 v3, v0, v3
	v_subrev_u32_e32 v5, s10, v3
	v_cmp_le_u32_e32 vcc, s10, v3
	v_cndmask_b32_e32 v3, v3, v5, vcc
	v_cndmask_b32_e32 v2, v2, v4, vcc
	v_add_u32_e32 v4, 1, v2
	v_cmp_le_u32_e32 vcc, s10, v3
	v_cndmask_b32_e32 v4, v2, v4, vcc
	v_mov_b32_e32 v5, 0
.LBB46_5:
	s_or_b64 exec, exec, s[0:1]
	v_or_b32_e32 v3, s3, v5
	v_mov_b32_e32 v2, 0
	v_cmp_ne_u64_e32 vcc, 0, v[2:3]
                                        ; implicit-def: $vgpr2_vgpr3
	s_and_saveexec_b64 s[0:1], vcc
	s_xor_b64 s[12:13], exec, s[0:1]
	s_cbranch_execz .LBB46_7
; %bb.6:
	s_ashr_i32 s0, s3, 31
	s_add_u32 s14, s2, s0
	s_mov_b32 s1, s0
	s_addc_u32 s15, s3, s0
	s_xor_b64 s[14:15], s[14:15], s[0:1]
	v_cvt_f32_u32_e32 v2, s14
	v_cvt_f32_u32_e32 v3, s15
	s_sub_u32 s3, 0, s14
	s_subb_u32 s16, 0, s15
	v_ashrrev_i32_e32 v9, 31, v5
	v_madmk_f32 v2, v3, 0x4f800000, v2
	v_rcp_f32_e32 v2, v2
	v_mul_f32_e32 v2, 0x5f7ffffc, v2
	v_mul_f32_e32 v3, 0x2f800000, v2
	v_trunc_f32_e32 v3, v3
	v_madmk_f32 v2, v3, 0xcf800000, v2
	v_cvt_u32_f32_e32 v3, v3
	v_cvt_u32_f32_e32 v2, v2
	v_readfirstlane_b32 s17, v3
	v_readfirstlane_b32 s0, v2
	s_mul_i32 s1, s3, s17
	s_mul_hi_u32 s19, s3, s0
	s_mul_i32 s18, s16, s0
	s_add_i32 s1, s19, s1
	s_add_i32 s1, s1, s18
	s_mul_i32 s20, s3, s0
	s_mul_i32 s19, s0, s1
	s_mul_hi_u32 s21, s0, s20
	s_mul_hi_u32 s18, s0, s1
	s_add_u32 s19, s21, s19
	s_addc_u32 s18, 0, s18
	s_mul_hi_u32 s22, s17, s20
	s_mul_i32 s20, s17, s20
	s_add_u32 s19, s19, s20
	s_mul_hi_u32 s21, s17, s1
	s_addc_u32 s18, s18, s22
	s_addc_u32 s19, s21, 0
	s_mul_i32 s1, s17, s1
	s_add_u32 s1, s18, s1
	s_addc_u32 s18, 0, s19
	s_add_u32 s19, s0, s1
	s_cselect_b64 s[0:1], -1, 0
	s_cmp_lg_u64 s[0:1], 0
	s_addc_u32 s17, s17, s18
	s_mul_i32 s0, s3, s17
	s_mul_hi_u32 s1, s3, s19
	s_add_i32 s0, s1, s0
	s_mul_i32 s16, s16, s19
	s_add_i32 s0, s0, s16
	s_mul_i32 s3, s3, s19
	s_mul_hi_u32 s16, s17, s3
	s_mul_i32 s18, s17, s3
	s_mul_i32 s21, s19, s0
	s_mul_hi_u32 s3, s19, s3
	s_mul_hi_u32 s20, s19, s0
	s_add_u32 s3, s3, s21
	s_addc_u32 s20, 0, s20
	s_add_u32 s3, s3, s18
	s_mul_hi_u32 s1, s17, s0
	s_addc_u32 s3, s20, s16
	s_addc_u32 s1, s1, 0
	s_mul_i32 s0, s17, s0
	s_add_u32 s0, s3, s0
	s_addc_u32 s3, 0, s1
	s_add_u32 s16, s19, s0
	s_cselect_b64 s[0:1], -1, 0
	s_cmp_lg_u64 s[0:1], 0
	v_add_co_u32_e32 v2, vcc, v4, v9
	s_addc_u32 s3, s17, s3
	v_xor_b32_e32 v10, v2, v9
	v_mad_u64_u32 v[2:3], s[0:1], v10, s3, 0
	v_mul_hi_u32 v7, v10, s16
	v_addc_co_u32_e32 v6, vcc, v5, v9, vcc
	v_xor_b32_e32 v11, v6, v9
	v_add_co_u32_e32 v12, vcc, v7, v2
	v_addc_co_u32_e32 v13, vcc, 0, v3, vcc
	v_mad_u64_u32 v[2:3], s[0:1], v11, s16, 0
	v_mad_u64_u32 v[6:7], s[0:1], v11, s3, 0
	v_add_co_u32_e32 v2, vcc, v12, v2
	v_addc_co_u32_e32 v2, vcc, v13, v3, vcc
	v_addc_co_u32_e32 v3, vcc, 0, v7, vcc
	v_add_co_u32_e32 v2, vcc, v2, v6
	v_addc_co_u32_e32 v3, vcc, 0, v3, vcc
	v_mul_lo_u32 v6, s15, v2
	v_mul_lo_u32 v7, s14, v3
	v_mad_u64_u32 v[2:3], s[0:1], s14, v2, 0
	v_add3_u32 v3, v3, v7, v6
	v_sub_u32_e32 v6, v11, v3
	v_mov_b32_e32 v7, s15
	v_sub_co_u32_e32 v2, vcc, v10, v2
	v_subb_co_u32_e64 v6, s[0:1], v6, v7, vcc
	v_subrev_co_u32_e64 v7, s[0:1], s14, v2
	v_subbrev_co_u32_e64 v6, s[0:1], 0, v6, s[0:1]
	v_cmp_le_u32_e64 s[0:1], s15, v6
	v_subb_co_u32_e32 v3, vcc, v11, v3, vcc
	v_cndmask_b32_e64 v10, 0, -1, s[0:1]
	v_cmp_le_u32_e64 s[0:1], s14, v7
	v_cmp_le_u32_e32 vcc, s15, v3
	v_cndmask_b32_e64 v12, 0, -1, s[0:1]
	v_cmp_eq_u32_e64 s[0:1], s15, v6
	v_cndmask_b32_e64 v11, 0, -1, vcc
	v_cmp_le_u32_e32 vcc, s14, v2
	v_cndmask_b32_e64 v6, v10, v12, s[0:1]
	v_cndmask_b32_e64 v12, 0, -1, vcc
	v_cmp_eq_u32_e32 vcc, s15, v3
	v_subrev_co_u32_e64 v10, s[0:1], s14, v7
	v_cndmask_b32_e32 v3, v11, v12, vcc
	v_cmp_ne_u32_e32 vcc, 0, v6
	v_cndmask_b32_e32 v6, v7, v10, vcc
	v_cmp_ne_u32_e32 vcc, 0, v3
	v_cndmask_b32_e32 v2, v2, v6, vcc
	v_xor_b32_e32 v2, v2, v9
	v_sub_co_u32_e32 v2, vcc, v2, v9
.LBB46_7:
	s_andn2_saveexec_b64 s[0:1], s[12:13]
	s_cbranch_execz .LBB46_9
; %bb.8:
	v_cvt_f32_u32_e32 v2, s2
	s_sub_i32 s3, 0, s2
	v_rcp_iflag_f32_e32 v2, v2
	v_mul_f32_e32 v2, 0x4f7ffffe, v2
	v_cvt_u32_f32_e32 v2, v2
	v_mul_lo_u32 v3, s3, v2
	v_mul_hi_u32 v3, v2, v3
	v_add_u32_e32 v2, v2, v3
	v_mul_hi_u32 v2, v4, v2
	v_mul_lo_u32 v2, v2, s2
	v_sub_u32_e32 v2, v4, v2
	v_subrev_u32_e32 v3, s2, v2
	v_cmp_le_u32_e32 vcc, s2, v2
	v_cndmask_b32_e32 v2, v2, v3, vcc
	v_subrev_u32_e32 v3, s2, v2
	v_cmp_le_u32_e32 vcc, s2, v2
	v_cndmask_b32_e32 v2, v2, v3, vcc
.LBB46_9:
	s_or_b64 exec, exec, s[0:1]
	v_or_b32_e32 v7, s9, v1
	v_mov_b32_e32 v6, 0
	v_cmp_ne_u64_e32 vcc, 0, v[6:7]
                                        ; implicit-def: $vgpr6_vgpr7
	s_and_saveexec_b64 s[0:1], vcc
	s_xor_b64 s[2:3], exec, s[0:1]
	s_cbranch_execz .LBB46_11
; %bb.10:
	s_ashr_i32 s12, s9, 31
	s_add_u32 s0, s6, s12
	s_mov_b32 s13, s12
	s_addc_u32 s1, s9, s12
	s_xor_b64 s[14:15], s[0:1], s[12:13]
	v_cvt_f32_u32_e32 v3, s14
	v_cvt_f32_u32_e32 v6, s15
	s_sub_u32 s9, 0, s14
	s_subb_u32 s13, 0, s15
	v_madmk_f32 v3, v6, 0x4f800000, v3
	v_rcp_f32_e32 v3, v3
	v_mul_f32_e32 v3, 0x5f7ffffc, v3
	v_mul_f32_e32 v6, 0x2f800000, v3
	v_trunc_f32_e32 v6, v6
	v_madmk_f32 v3, v6, 0xcf800000, v3
	v_cvt_u32_f32_e32 v6, v6
	v_cvt_u32_f32_e32 v3, v3
	v_readfirstlane_b32 s16, v6
	v_readfirstlane_b32 s0, v3
	s_mul_i32 s1, s9, s16
	s_mul_hi_u32 s18, s9, s0
	s_mul_i32 s17, s13, s0
	s_add_i32 s1, s18, s1
	s_add_i32 s1, s1, s17
	s_mul_i32 s19, s9, s0
	s_mul_i32 s18, s0, s1
	s_mul_hi_u32 s20, s0, s19
	s_mul_hi_u32 s17, s0, s1
	s_add_u32 s18, s20, s18
	s_addc_u32 s17, 0, s17
	s_mul_hi_u32 s21, s16, s19
	s_mul_i32 s19, s16, s19
	s_add_u32 s18, s18, s19
	s_mul_hi_u32 s20, s16, s1
	s_addc_u32 s17, s17, s21
	s_addc_u32 s18, s20, 0
	s_mul_i32 s1, s16, s1
	s_add_u32 s1, s17, s1
	s_addc_u32 s17, 0, s18
	s_add_u32 s18, s0, s1
	s_cselect_b64 s[0:1], -1, 0
	s_cmp_lg_u64 s[0:1], 0
	s_addc_u32 s16, s16, s17
	s_mul_i32 s0, s9, s16
	s_mul_hi_u32 s1, s9, s18
	s_add_i32 s0, s1, s0
	s_mul_i32 s13, s13, s18
	s_add_i32 s0, s0, s13
	s_mul_i32 s9, s9, s18
	s_mul_hi_u32 s13, s16, s9
	s_mul_i32 s17, s16, s9
	s_mul_i32 s20, s18, s0
	s_mul_hi_u32 s9, s18, s9
	s_mul_hi_u32 s19, s18, s0
	s_add_u32 s9, s9, s20
	s_addc_u32 s19, 0, s19
	s_add_u32 s9, s9, s17
	s_mul_hi_u32 s1, s16, s0
	s_addc_u32 s9, s19, s13
	s_addc_u32 s1, s1, 0
	s_mul_i32 s0, s16, s0
	s_add_u32 s0, s9, s0
	s_addc_u32 s9, 0, s1
	s_add_u32 s13, s18, s0
	s_cselect_b64 s[0:1], -1, 0
	s_cmp_lg_u64 s[0:1], 0
	v_add_co_u32_e32 v3, vcc, v0, v8
	s_addc_u32 s9, s16, s9
	v_xor_b32_e32 v3, v3, v8
	v_mad_u64_u32 v[6:7], s[0:1], v3, s9, 0
	v_mul_hi_u32 v10, v3, s13
	v_addc_co_u32_e32 v9, vcc, v1, v8, vcc
	v_xor_b32_e32 v11, v9, v8
	v_add_co_u32_e32 v12, vcc, v10, v6
	v_addc_co_u32_e32 v13, vcc, 0, v7, vcc
	v_mad_u64_u32 v[6:7], s[0:1], v11, s13, 0
	v_mad_u64_u32 v[9:10], s[0:1], v11, s9, 0
	v_add_co_u32_e32 v6, vcc, v12, v6
	v_addc_co_u32_e32 v6, vcc, v13, v7, vcc
	v_addc_co_u32_e32 v7, vcc, 0, v10, vcc
	v_add_co_u32_e32 v9, vcc, v6, v9
	v_addc_co_u32_e32 v6, vcc, 0, v7, vcc
	v_mul_lo_u32 v10, s15, v9
	v_mul_lo_u32 v12, s14, v6
	v_mad_u64_u32 v[6:7], s[0:1], s14, v9, 0
	v_add3_u32 v7, v7, v12, v10
	v_sub_u32_e32 v10, v11, v7
	v_mov_b32_e32 v12, s15
	v_sub_co_u32_e32 v3, vcc, v3, v6
	v_subb_co_u32_e64 v6, s[0:1], v10, v12, vcc
	v_subrev_co_u32_e64 v10, s[0:1], s14, v3
	v_subbrev_co_u32_e64 v6, s[0:1], 0, v6, s[0:1]
	v_cmp_le_u32_e64 s[0:1], s15, v6
	v_subb_co_u32_e32 v7, vcc, v11, v7, vcc
	v_cndmask_b32_e64 v12, 0, -1, s[0:1]
	v_cmp_le_u32_e64 s[0:1], s14, v10
	v_cmp_le_u32_e32 vcc, s15, v7
	v_cndmask_b32_e64 v10, 0, -1, s[0:1]
	v_cmp_eq_u32_e64 s[0:1], s15, v6
	v_cndmask_b32_e64 v11, 0, -1, vcc
	v_cmp_le_u32_e32 vcc, s14, v3
	v_cndmask_b32_e64 v6, v12, v10, s[0:1]
	v_cndmask_b32_e64 v3, 0, -1, vcc
	v_cmp_eq_u32_e32 vcc, s15, v7
	v_add_co_u32_e64 v10, s[0:1], 2, v9
	v_add_co_u32_e64 v12, s[0:1], 1, v9
	v_cndmask_b32_e32 v3, v11, v3, vcc
	v_cmp_ne_u32_e32 vcc, 0, v6
	v_cndmask_b32_e32 v6, v12, v10, vcc
	v_cmp_ne_u32_e32 vcc, 0, v3
	v_cndmask_b32_e32 v3, v9, v6, vcc
	v_xor_b32_e32 v6, s12, v8
	v_xor_b32_e32 v3, v3, v6
	v_sub_co_u32_e32 v6, vcc, v3, v6
.LBB46_11:
	s_andn2_saveexec_b64 s[0:1], s[2:3]
	s_cbranch_execz .LBB46_13
; %bb.12:
	v_cvt_f32_u32_e32 v3, s6
	s_sub_i32 s2, 0, s6
	v_rcp_iflag_f32_e32 v3, v3
	v_mul_f32_e32 v3, 0x4f7ffffe, v3
	v_cvt_u32_f32_e32 v3, v3
	v_mul_lo_u32 v6, s2, v3
	v_mul_hi_u32 v6, v3, v6
	v_add_u32_e32 v3, v3, v6
	v_mul_hi_u32 v3, v0, v3
	v_mul_lo_u32 v6, v3, s6
	v_add_u32_e32 v7, 1, v3
	v_sub_u32_e32 v6, v0, v6
	v_subrev_u32_e32 v8, s6, v6
	v_cmp_le_u32_e32 vcc, s6, v6
	v_cndmask_b32_e32 v6, v6, v8, vcc
	v_cndmask_b32_e32 v3, v3, v7, vcc
	v_add_u32_e32 v7, 1, v3
	v_cmp_le_u32_e32 vcc, s6, v6
	v_cndmask_b32_e32 v6, v3, v7, vcc
.LBB46_13:
	s_or_b64 exec, exec, s[0:1]
	v_mul_lo_u32 v7, v4, s11
	v_mad_u64_u32 v[3:4], s[0:1], v4, s10, 0
	s_load_dwordx4 s[0:3], s[4:5], 0xb0
	s_load_dword s6, s[4:5], 0xc0
	v_mul_lo_u32 v5, v5, s10
	v_sub_co_u32_e32 v0, vcc, v0, v3
	s_waitcnt lgkmcnt(0)
	s_add_i32 s27, s3, s7
	s_add_i32 s26, s6, s8
	s_load_dwordx16 s[8:23], s[4:5], 0x18
	s_sub_i32 s3, 0, s2
	s_max_i32 s30, s2, 0
	v_max_i32_e32 v3, s2, v0
	s_max_i32 s3, s3, 0
	s_waitcnt lgkmcnt(0)
	s_add_i32 s2, s2, s12
	s_add_i32 s2, s2, -1
	v_min_i32_e32 v3, s2, v3
	s_sub_i32 s2, s3, s30
	v_add3_u32 v4, v4, v7, v5
	s_sub_i32 s6, 0, s1
	s_max_i32 s9, s1, 0
	v_add_u32_e32 v5, s2, v3
	v_max_i32_e32 v3, s1, v2
	s_add_i32 s1, s1, s10
	s_max_i32 s28, s6, 0
	s_add_i32 s1, s1, -1
	v_min_i32_e32 v3, s1, v3
	s_sub_i32 s1, s28, s9
	s_sub_i32 s6, 0, s0
	s_max_i32 s11, s0, 0
	v_add_u32_e32 v7, s1, v3
	v_max_i32_e32 v3, s0, v6
	s_add_i32 s0, s0, s8
	s_max_i32 s29, s6, 0
	s_add_i32 s0, s0, -1
	s_load_dwordx2 s[6:7], s[4:5], 0x0
	v_min_i32_e32 v3, s0, v3
	s_sub_i32 s0, s29, s11
	s_ashr_i32 s28, s26, 31
	v_add_u32_e32 v3, s0, v3
	s_mul_i32 s0, s14, s28
	s_mul_hi_u32 s1, s14, s26
	s_add_i32 s0, s1, s0
	s_mul_i32 s1, s15, s26
	s_add_i32 s1, s0, s1
	s_mul_i32 s0, s14, s26
	s_lshl_b64 s[0:1], s[0:1], 2
	s_waitcnt lgkmcnt(0)
	s_add_u32 s6, s6, s0
	s_addc_u32 s7, s7, s1
	s_ashr_i32 s29, s27, 31
	v_subb_co_u32_e32 v1, vcc, v1, v4, vcc
	s_mul_i32 s0, s16, s29
	s_mul_hi_u32 s1, s16, s27
	v_ashrrev_i32_e32 v4, 31, v3
	s_add_i32 s0, s1, s0
	s_mul_i32 s1, s17, s27
	v_mul_lo_u32 v8, s18, v4
	v_mul_lo_u32 v9, s19, v3
	v_mad_u64_u32 v[3:4], s[2:3], s18, v3, 0
	s_add_i32 s1, s0, s1
	s_mul_i32 s0, s16, s27
	s_lshl_b64 s[0:1], s[0:1], 2
	s_add_u32 s2, s6, s0
	s_addc_u32 s0, s7, s1
	v_add3_u32 v4, v4, v8, v9
	v_ashrrev_i32_e32 v8, 31, v7
	v_mov_b32_e32 v9, s0
	v_mul_lo_u32 v10, s20, v8
	v_mul_lo_u32 v11, s21, v7
	v_mad_u64_u32 v[7:8], s[0:1], s20, v7, 0
	v_lshlrev_b64 v[3:4], 2, v[3:4]
	s_load_dwordx2 s[24:25], s[4:5], 0xa8
	v_add_co_u32_e32 v12, vcc, s2, v3
	v_add3_u32 v8, v8, v10, v11
	v_addc_co_u32_e32 v9, vcc, v9, v4, vcc
	v_lshlrev_b64 v[3:4], 2, v[7:8]
	v_ashrrev_i32_e32 v7, 31, v5
	v_mul_lo_u32 v10, s22, v7
	v_mul_lo_u32 v11, s23, v5
	v_mad_u64_u32 v[7:8], s[0:1], s22, v5, 0
	v_add_co_u32_e32 v5, vcc, v12, v3
	v_add3_u32 v8, v8, v10, v11
	v_addc_co_u32_e32 v9, vcc, v9, v4, vcc
	v_lshlrev_b64 v[3:4], 2, v[7:8]
	v_add_co_u32_e32 v3, vcc, v5, v3
	v_addc_co_u32_e32 v4, vcc, v9, v4, vcc
	global_load_dword v7, v[3:4], off
	s_load_dwordx8 s[8:15], s[4:5], 0x88
	s_load_dwordx2 s[0:1], s[4:5], 0x58
	v_ashrrev_i32_e32 v3, 31, v6
	s_waitcnt lgkmcnt(0)
	s_mul_i32 s2, s8, s28
	s_mul_hi_u32 s3, s8, s26
	s_add_i32 s2, s3, s2
	s_mul_i32 s3, s9, s26
	s_add_i32 s3, s2, s3
	s_mul_i32 s2, s8, s26
	s_lshl_b64 s[2:3], s[2:3], 2
	s_add_u32 s4, s0, s2
	s_addc_u32 s5, s1, s3
	s_mul_i32 s0, s10, s29
	s_mul_hi_u32 s1, s10, s27
	s_add_i32 s0, s1, s0
	s_mul_i32 s1, s11, s27
	v_mul_lo_u32 v5, s13, v6
	v_mul_lo_u32 v8, s12, v3
	v_mad_u64_u32 v[3:4], s[2:3], s12, v6, 0
	s_add_i32 s1, s0, s1
	s_mul_i32 s0, s10, s27
	s_lshl_b64 s[0:1], s[0:1], 2
	s_add_u32 s2, s4, s0
	s_addc_u32 s0, s5, s1
	v_add3_u32 v4, v4, v8, v5
	v_ashrrev_i32_e32 v5, 31, v2
	v_mov_b32_e32 v8, s0
	v_mul_lo_u32 v9, s15, v2
	v_mul_lo_u32 v10, s14, v5
	v_mad_u64_u32 v[5:6], s[0:1], s14, v2, 0
	v_lshlrev_b64 v[3:4], 2, v[3:4]
	v_add3_u32 v6, v6, v10, v9
	v_add_co_u32_e32 v11, vcc, s2, v3
	v_lshlrev_b64 v[2:3], 2, v[5:6]
	v_mul_lo_u32 v5, s25, v0
	v_mul_lo_u32 v6, s24, v1
	v_mad_u64_u32 v[0:1], s[0:1], s24, v0, 0
	v_addc_co_u32_e32 v4, vcc, v8, v4, vcc
	v_add3_u32 v1, v1, v6, v5
	v_add_co_u32_e32 v2, vcc, v11, v2
	v_lshlrev_b64 v[0:1], 2, v[0:1]
	v_addc_co_u32_e32 v3, vcc, v4, v3, vcc
	v_add_co_u32_e32 v0, vcc, v2, v0
	v_addc_co_u32_e32 v1, vcc, v3, v1, vcc
	s_waitcnt vmcnt(0)
	global_store_dword v[0:1], v7, off
.LBB46_14:
	s_endpgm
	.section	.rodata,"a",@progbits
	.p2align	6, 0x0
	.amdhsa_kernel _ZN2at6native12_GLOBAL__N_132replication_pad_forward_kernel3dIfEEvN5torch10headeronly6detail27GenericPackedTensorAccessorINS5_14TensorAccessorIN3c108ArrayRefIlEEKT_Lm4ENS4_16DefaultPtrTraitsElEENS_6detail16IndexBoundsCheckILm5ElEESC_Lm5ESD_lEENS6_INS7_ISA_SB_Lm4ESD_lEESH_SB_Lm5ESD_lEEiiiii
		.amdhsa_group_segment_fixed_size 0
		.amdhsa_private_segment_fixed_size 0
		.amdhsa_kernarg_size 456
		.amdhsa_user_sgpr_count 6
		.amdhsa_user_sgpr_private_segment_buffer 1
		.amdhsa_user_sgpr_dispatch_ptr 0
		.amdhsa_user_sgpr_queue_ptr 0
		.amdhsa_user_sgpr_kernarg_segment_ptr 1
		.amdhsa_user_sgpr_dispatch_id 0
		.amdhsa_user_sgpr_flat_scratch_init 0
		.amdhsa_user_sgpr_private_segment_size 0
		.amdhsa_uses_dynamic_stack 0
		.amdhsa_system_sgpr_private_segment_wavefront_offset 0
		.amdhsa_system_sgpr_workgroup_id_x 1
		.amdhsa_system_sgpr_workgroup_id_y 1
		.amdhsa_system_sgpr_workgroup_id_z 1
		.amdhsa_system_sgpr_workgroup_info 0
		.amdhsa_system_vgpr_workitem_id 0
		.amdhsa_next_free_vgpr 14
		.amdhsa_next_free_sgpr 31
		.amdhsa_reserve_vcc 1
		.amdhsa_reserve_flat_scratch 0
		.amdhsa_float_round_mode_32 0
		.amdhsa_float_round_mode_16_64 0
		.amdhsa_float_denorm_mode_32 3
		.amdhsa_float_denorm_mode_16_64 3
		.amdhsa_dx10_clamp 1
		.amdhsa_ieee_mode 1
		.amdhsa_fp16_overflow 0
		.amdhsa_exception_fp_ieee_invalid_op 0
		.amdhsa_exception_fp_denorm_src 0
		.amdhsa_exception_fp_ieee_div_zero 0
		.amdhsa_exception_fp_ieee_overflow 0
		.amdhsa_exception_fp_ieee_underflow 0
		.amdhsa_exception_fp_ieee_inexact 0
		.amdhsa_exception_int_div_zero 0
	.end_amdhsa_kernel
	.section	.text._ZN2at6native12_GLOBAL__N_132replication_pad_forward_kernel3dIfEEvN5torch10headeronly6detail27GenericPackedTensorAccessorINS5_14TensorAccessorIN3c108ArrayRefIlEEKT_Lm4ENS4_16DefaultPtrTraitsElEENS_6detail16IndexBoundsCheckILm5ElEESC_Lm5ESD_lEENS6_INS7_ISA_SB_Lm4ESD_lEESH_SB_Lm5ESD_lEEiiiii,"axG",@progbits,_ZN2at6native12_GLOBAL__N_132replication_pad_forward_kernel3dIfEEvN5torch10headeronly6detail27GenericPackedTensorAccessorINS5_14TensorAccessorIN3c108ArrayRefIlEEKT_Lm4ENS4_16DefaultPtrTraitsElEENS_6detail16IndexBoundsCheckILm5ElEESC_Lm5ESD_lEENS6_INS7_ISA_SB_Lm4ESD_lEESH_SB_Lm5ESD_lEEiiiii,comdat
.Lfunc_end46:
	.size	_ZN2at6native12_GLOBAL__N_132replication_pad_forward_kernel3dIfEEvN5torch10headeronly6detail27GenericPackedTensorAccessorINS5_14TensorAccessorIN3c108ArrayRefIlEEKT_Lm4ENS4_16DefaultPtrTraitsElEENS_6detail16IndexBoundsCheckILm5ElEESC_Lm5ESD_lEENS6_INS7_ISA_SB_Lm4ESD_lEESH_SB_Lm5ESD_lEEiiiii, .Lfunc_end46-_ZN2at6native12_GLOBAL__N_132replication_pad_forward_kernel3dIfEEvN5torch10headeronly6detail27GenericPackedTensorAccessorINS5_14TensorAccessorIN3c108ArrayRefIlEEKT_Lm4ENS4_16DefaultPtrTraitsElEENS_6detail16IndexBoundsCheckILm5ElEESC_Lm5ESD_lEENS6_INS7_ISA_SB_Lm4ESD_lEESH_SB_Lm5ESD_lEEiiiii
                                        ; -- End function
	.set _ZN2at6native12_GLOBAL__N_132replication_pad_forward_kernel3dIfEEvN5torch10headeronly6detail27GenericPackedTensorAccessorINS5_14TensorAccessorIN3c108ArrayRefIlEEKT_Lm4ENS4_16DefaultPtrTraitsElEENS_6detail16IndexBoundsCheckILm5ElEESC_Lm5ESD_lEENS6_INS7_ISA_SB_Lm4ESD_lEESH_SB_Lm5ESD_lEEiiiii.num_vgpr, 14
	.set _ZN2at6native12_GLOBAL__N_132replication_pad_forward_kernel3dIfEEvN5torch10headeronly6detail27GenericPackedTensorAccessorINS5_14TensorAccessorIN3c108ArrayRefIlEEKT_Lm4ENS4_16DefaultPtrTraitsElEENS_6detail16IndexBoundsCheckILm5ElEESC_Lm5ESD_lEENS6_INS7_ISA_SB_Lm4ESD_lEESH_SB_Lm5ESD_lEEiiiii.num_agpr, 0
	.set _ZN2at6native12_GLOBAL__N_132replication_pad_forward_kernel3dIfEEvN5torch10headeronly6detail27GenericPackedTensorAccessorINS5_14TensorAccessorIN3c108ArrayRefIlEEKT_Lm4ENS4_16DefaultPtrTraitsElEENS_6detail16IndexBoundsCheckILm5ElEESC_Lm5ESD_lEENS6_INS7_ISA_SB_Lm4ESD_lEESH_SB_Lm5ESD_lEEiiiii.numbered_sgpr, 31
	.set _ZN2at6native12_GLOBAL__N_132replication_pad_forward_kernel3dIfEEvN5torch10headeronly6detail27GenericPackedTensorAccessorINS5_14TensorAccessorIN3c108ArrayRefIlEEKT_Lm4ENS4_16DefaultPtrTraitsElEENS_6detail16IndexBoundsCheckILm5ElEESC_Lm5ESD_lEENS6_INS7_ISA_SB_Lm4ESD_lEESH_SB_Lm5ESD_lEEiiiii.num_named_barrier, 0
	.set _ZN2at6native12_GLOBAL__N_132replication_pad_forward_kernel3dIfEEvN5torch10headeronly6detail27GenericPackedTensorAccessorINS5_14TensorAccessorIN3c108ArrayRefIlEEKT_Lm4ENS4_16DefaultPtrTraitsElEENS_6detail16IndexBoundsCheckILm5ElEESC_Lm5ESD_lEENS6_INS7_ISA_SB_Lm4ESD_lEESH_SB_Lm5ESD_lEEiiiii.private_seg_size, 0
	.set _ZN2at6native12_GLOBAL__N_132replication_pad_forward_kernel3dIfEEvN5torch10headeronly6detail27GenericPackedTensorAccessorINS5_14TensorAccessorIN3c108ArrayRefIlEEKT_Lm4ENS4_16DefaultPtrTraitsElEENS_6detail16IndexBoundsCheckILm5ElEESC_Lm5ESD_lEENS6_INS7_ISA_SB_Lm4ESD_lEESH_SB_Lm5ESD_lEEiiiii.uses_vcc, 1
	.set _ZN2at6native12_GLOBAL__N_132replication_pad_forward_kernel3dIfEEvN5torch10headeronly6detail27GenericPackedTensorAccessorINS5_14TensorAccessorIN3c108ArrayRefIlEEKT_Lm4ENS4_16DefaultPtrTraitsElEENS_6detail16IndexBoundsCheckILm5ElEESC_Lm5ESD_lEENS6_INS7_ISA_SB_Lm4ESD_lEESH_SB_Lm5ESD_lEEiiiii.uses_flat_scratch, 0
	.set _ZN2at6native12_GLOBAL__N_132replication_pad_forward_kernel3dIfEEvN5torch10headeronly6detail27GenericPackedTensorAccessorINS5_14TensorAccessorIN3c108ArrayRefIlEEKT_Lm4ENS4_16DefaultPtrTraitsElEENS_6detail16IndexBoundsCheckILm5ElEESC_Lm5ESD_lEENS6_INS7_ISA_SB_Lm4ESD_lEESH_SB_Lm5ESD_lEEiiiii.has_dyn_sized_stack, 0
	.set _ZN2at6native12_GLOBAL__N_132replication_pad_forward_kernel3dIfEEvN5torch10headeronly6detail27GenericPackedTensorAccessorINS5_14TensorAccessorIN3c108ArrayRefIlEEKT_Lm4ENS4_16DefaultPtrTraitsElEENS_6detail16IndexBoundsCheckILm5ElEESC_Lm5ESD_lEENS6_INS7_ISA_SB_Lm4ESD_lEESH_SB_Lm5ESD_lEEiiiii.has_recursion, 0
	.set _ZN2at6native12_GLOBAL__N_132replication_pad_forward_kernel3dIfEEvN5torch10headeronly6detail27GenericPackedTensorAccessorINS5_14TensorAccessorIN3c108ArrayRefIlEEKT_Lm4ENS4_16DefaultPtrTraitsElEENS_6detail16IndexBoundsCheckILm5ElEESC_Lm5ESD_lEENS6_INS7_ISA_SB_Lm4ESD_lEESH_SB_Lm5ESD_lEEiiiii.has_indirect_call, 0
	.section	.AMDGPU.csdata,"",@progbits
; Kernel info:
; codeLenInByte = 2952
; TotalNumSgprs: 35
; NumVgprs: 14
; ScratchSize: 0
; MemoryBound: 0
; FloatMode: 240
; IeeeMode: 1
; LDSByteSize: 0 bytes/workgroup (compile time only)
; SGPRBlocks: 4
; VGPRBlocks: 3
; NumSGPRsForWavesPerEU: 35
; NumVGPRsForWavesPerEU: 14
; Occupancy: 10
; WaveLimiterHint : 1
; COMPUTE_PGM_RSRC2:SCRATCH_EN: 0
; COMPUTE_PGM_RSRC2:USER_SGPR: 6
; COMPUTE_PGM_RSRC2:TRAP_HANDLER: 0
; COMPUTE_PGM_RSRC2:TGID_X_EN: 1
; COMPUTE_PGM_RSRC2:TGID_Y_EN: 1
; COMPUTE_PGM_RSRC2:TGID_Z_EN: 1
; COMPUTE_PGM_RSRC2:TIDIG_COMP_CNT: 0
	.section	.text._ZN2at6native12_GLOBAL__N_132replication_pad_forward_kernel3dIN3c107complexIdEEEEvN5torch10headeronly6detail27GenericPackedTensorAccessorINS8_14TensorAccessorINS3_8ArrayRefIlEEKT_Lm4ENS7_16DefaultPtrTraitsElEENS_6detail16IndexBoundsCheckILm5ElEESE_Lm5ESF_lEENS9_INSA_ISC_SD_Lm4ESF_lEESJ_SD_Lm5ESF_lEEiiiii,"axG",@progbits,_ZN2at6native12_GLOBAL__N_132replication_pad_forward_kernel3dIN3c107complexIdEEEEvN5torch10headeronly6detail27GenericPackedTensorAccessorINS8_14TensorAccessorINS3_8ArrayRefIlEEKT_Lm4ENS7_16DefaultPtrTraitsElEENS_6detail16IndexBoundsCheckILm5ElEESE_Lm5ESF_lEENS9_INSA_ISC_SD_Lm4ESF_lEESJ_SD_Lm5ESF_lEEiiiii,comdat
	.globl	_ZN2at6native12_GLOBAL__N_132replication_pad_forward_kernel3dIN3c107complexIdEEEEvN5torch10headeronly6detail27GenericPackedTensorAccessorINS8_14TensorAccessorINS3_8ArrayRefIlEEKT_Lm4ENS7_16DefaultPtrTraitsElEENS_6detail16IndexBoundsCheckILm5ElEESE_Lm5ESF_lEENS9_INSA_ISC_SD_Lm4ESF_lEESJ_SD_Lm5ESF_lEEiiiii ; -- Begin function _ZN2at6native12_GLOBAL__N_132replication_pad_forward_kernel3dIN3c107complexIdEEEEvN5torch10headeronly6detail27GenericPackedTensorAccessorINS8_14TensorAccessorINS3_8ArrayRefIlEEKT_Lm4ENS7_16DefaultPtrTraitsElEENS_6detail16IndexBoundsCheckILm5ElEESE_Lm5ESF_lEENS9_INSA_ISC_SD_Lm4ESF_lEESJ_SD_Lm5ESF_lEEiiiii
	.p2align	8
	.type	_ZN2at6native12_GLOBAL__N_132replication_pad_forward_kernel3dIN3c107complexIdEEEEvN5torch10headeronly6detail27GenericPackedTensorAccessorINS8_14TensorAccessorINS3_8ArrayRefIlEEKT_Lm4ENS7_16DefaultPtrTraitsElEENS_6detail16IndexBoundsCheckILm5ElEESE_Lm5ESF_lEENS9_INSA_ISC_SD_Lm4ESF_lEESJ_SD_Lm5ESF_lEEiiiii,@function
_ZN2at6native12_GLOBAL__N_132replication_pad_forward_kernel3dIN3c107complexIdEEEEvN5torch10headeronly6detail27GenericPackedTensorAccessorINS8_14TensorAccessorINS3_8ArrayRefIlEEKT_Lm4ENS7_16DefaultPtrTraitsElEENS_6detail16IndexBoundsCheckILm5ElEESE_Lm5ESF_lEENS9_INSA_ISC_SD_Lm4ESF_lEESJ_SD_Lm5ESF_lEEiiiii: ; @_ZN2at6native12_GLOBAL__N_132replication_pad_forward_kernel3dIN3c107complexIdEEEEvN5torch10headeronly6detail27GenericPackedTensorAccessorINS8_14TensorAccessorINS3_8ArrayRefIlEEKT_Lm4ENS7_16DefaultPtrTraitsElEENS_6detail16IndexBoundsCheckILm5ElEESE_Lm5ESF_lEENS9_INSA_ISC_SD_Lm4ESF_lEESJ_SD_Lm5ESF_lEEiiiii
; %bb.0:
	s_load_dword s9, s[4:5], 0xd4
	s_load_dwordx4 s[0:3], s[4:5], 0x70
	s_load_dwordx2 s[10:11], s[4:5], 0x80
	s_waitcnt lgkmcnt(0)
	s_and_b32 s9, s9, 0xffff
	s_mul_i32 s6, s6, s9
	v_add_u32_e32 v0, s6, v0
	s_mul_i32 s6, s10, s3
	s_mul_hi_u32 s9, s10, s2
	s_add_i32 s9, s9, s6
	s_mul_i32 s6, s11, s2
	s_add_i32 s9, s9, s6
	s_mul_i32 s6, s10, s2
	s_mul_i32 s1, s6, s1
	s_mul_hi_u32 s12, s6, s0
	s_add_i32 s1, s12, s1
	s_mul_i32 s12, s9, s0
	v_ashrrev_i32_e32 v1, 31, v0
	s_add_i32 s1, s1, s12
	s_mul_i32 s0, s6, s0
	v_cmp_gt_i64_e32 vcc, s[0:1], v[0:1]
	s_and_saveexec_b64 s[0:1], vcc
	s_cbranch_execz .LBB47_14
; %bb.1:
	v_or_b32_e32 v3, s11, v1
	v_mov_b32_e32 v2, 0
	v_cmp_ne_u64_e32 vcc, 0, v[2:3]
	v_ashrrev_i32_e32 v8, 31, v1
                                        ; implicit-def: $vgpr4_vgpr5
	s_and_saveexec_b64 s[0:1], vcc
	s_xor_b64 s[12:13], exec, s[0:1]
	s_cbranch_execz .LBB47_3
; %bb.2:
	s_ashr_i32 s14, s11, 31
	s_add_u32 s0, s10, s14
	s_mov_b32 s15, s14
	s_addc_u32 s1, s11, s14
	s_xor_b64 s[16:17], s[0:1], s[14:15]
	v_cvt_f32_u32_e32 v2, s16
	v_cvt_f32_u32_e32 v3, s17
	s_sub_u32 s15, 0, s16
	s_subb_u32 s18, 0, s17
	v_madmk_f32 v2, v3, 0x4f800000, v2
	v_rcp_f32_e32 v2, v2
	v_mul_f32_e32 v2, 0x5f7ffffc, v2
	v_mul_f32_e32 v3, 0x2f800000, v2
	v_trunc_f32_e32 v3, v3
	v_madmk_f32 v2, v3, 0xcf800000, v2
	v_cvt_u32_f32_e32 v3, v3
	v_cvt_u32_f32_e32 v2, v2
	v_readfirstlane_b32 s19, v3
	v_readfirstlane_b32 s0, v2
	s_mul_i32 s1, s15, s19
	s_mul_hi_u32 s21, s15, s0
	s_mul_i32 s20, s18, s0
	s_add_i32 s1, s21, s1
	s_add_i32 s1, s1, s20
	s_mul_i32 s22, s15, s0
	s_mul_i32 s21, s0, s1
	s_mul_hi_u32 s23, s0, s22
	s_mul_hi_u32 s20, s0, s1
	s_add_u32 s21, s23, s21
	s_addc_u32 s20, 0, s20
	s_mul_hi_u32 s24, s19, s22
	s_mul_i32 s22, s19, s22
	s_add_u32 s21, s21, s22
	s_mul_hi_u32 s23, s19, s1
	s_addc_u32 s20, s20, s24
	s_addc_u32 s21, s23, 0
	s_mul_i32 s1, s19, s1
	s_add_u32 s1, s20, s1
	s_addc_u32 s20, 0, s21
	s_add_u32 s21, s0, s1
	s_cselect_b64 s[0:1], -1, 0
	s_cmp_lg_u64 s[0:1], 0
	s_addc_u32 s19, s19, s20
	s_mul_i32 s0, s15, s19
	s_mul_hi_u32 s1, s15, s21
	s_add_i32 s0, s1, s0
	s_mul_i32 s18, s18, s21
	s_add_i32 s0, s0, s18
	s_mul_i32 s15, s15, s21
	s_mul_hi_u32 s18, s19, s15
	s_mul_i32 s20, s19, s15
	s_mul_i32 s23, s21, s0
	s_mul_hi_u32 s15, s21, s15
	s_mul_hi_u32 s22, s21, s0
	s_add_u32 s15, s15, s23
	s_addc_u32 s22, 0, s22
	s_add_u32 s15, s15, s20
	s_mul_hi_u32 s1, s19, s0
	s_addc_u32 s15, s22, s18
	s_addc_u32 s1, s1, 0
	s_mul_i32 s0, s19, s0
	s_add_u32 s0, s15, s0
	s_addc_u32 s15, 0, s1
	s_add_u32 s18, s21, s0
	s_cselect_b64 s[0:1], -1, 0
	s_cmp_lg_u64 s[0:1], 0
	v_add_co_u32_e32 v2, vcc, v0, v8
	s_addc_u32 s15, s19, s15
	v_xor_b32_e32 v6, v2, v8
	v_mad_u64_u32 v[2:3], s[0:1], v6, s15, 0
	v_mul_hi_u32 v5, v6, s18
	v_addc_co_u32_e32 v4, vcc, v1, v8, vcc
	v_xor_b32_e32 v7, v4, v8
	v_add_co_u32_e32 v9, vcc, v5, v2
	v_addc_co_u32_e32 v10, vcc, 0, v3, vcc
	v_mad_u64_u32 v[2:3], s[0:1], v7, s18, 0
	v_mad_u64_u32 v[4:5], s[0:1], v7, s15, 0
	v_add_co_u32_e32 v2, vcc, v9, v2
	v_addc_co_u32_e32 v2, vcc, v10, v3, vcc
	v_addc_co_u32_e32 v3, vcc, 0, v5, vcc
	v_add_co_u32_e32 v4, vcc, v2, v4
	v_addc_co_u32_e32 v5, vcc, 0, v3, vcc
	v_mul_lo_u32 v9, s17, v4
	v_mul_lo_u32 v10, s16, v5
	v_mad_u64_u32 v[2:3], s[0:1], s16, v4, 0
	v_add3_u32 v3, v3, v10, v9
	v_sub_u32_e32 v9, v7, v3
	v_mov_b32_e32 v10, s17
	v_sub_co_u32_e32 v2, vcc, v6, v2
	v_subb_co_u32_e64 v6, s[0:1], v9, v10, vcc
	v_subrev_co_u32_e64 v9, s[0:1], s16, v2
	v_subbrev_co_u32_e64 v6, s[0:1], 0, v6, s[0:1]
	v_cmp_le_u32_e64 s[0:1], s17, v6
	v_cndmask_b32_e64 v10, 0, -1, s[0:1]
	v_cmp_le_u32_e64 s[0:1], s16, v9
	v_cndmask_b32_e64 v9, 0, -1, s[0:1]
	v_cmp_eq_u32_e64 s[0:1], s17, v6
	v_cndmask_b32_e64 v6, v10, v9, s[0:1]
	v_add_co_u32_e64 v9, s[0:1], 2, v4
	v_subb_co_u32_e32 v3, vcc, v7, v3, vcc
	v_addc_co_u32_e64 v10, s[0:1], 0, v5, s[0:1]
	v_cmp_le_u32_e32 vcc, s17, v3
	v_add_co_u32_e64 v11, s[0:1], 1, v4
	v_cndmask_b32_e64 v7, 0, -1, vcc
	v_cmp_le_u32_e32 vcc, s16, v2
	v_addc_co_u32_e64 v12, s[0:1], 0, v5, s[0:1]
	v_cndmask_b32_e64 v2, 0, -1, vcc
	v_cmp_eq_u32_e32 vcc, s17, v3
	v_cmp_ne_u32_e64 s[0:1], 0, v6
	v_cndmask_b32_e32 v2, v7, v2, vcc
	v_cndmask_b32_e64 v6, v12, v10, s[0:1]
	v_cmp_ne_u32_e32 vcc, 0, v2
	v_cndmask_b32_e64 v3, v11, v9, s[0:1]
	v_cndmask_b32_e32 v2, v5, v6, vcc
	v_cndmask_b32_e32 v3, v4, v3, vcc
	v_xor_b32_e32 v5, s14, v8
	v_xor_b32_e32 v3, v3, v5
	;; [unrolled: 1-line block ×3, first 2 shown]
	v_sub_co_u32_e32 v4, vcc, v3, v5
	v_subb_co_u32_e32 v5, vcc, v2, v5, vcc
.LBB47_3:
	s_andn2_saveexec_b64 s[0:1], s[12:13]
	s_cbranch_execz .LBB47_5
; %bb.4:
	v_cvt_f32_u32_e32 v2, s10
	s_sub_i32 s12, 0, s10
	v_rcp_iflag_f32_e32 v2, v2
	v_mul_f32_e32 v2, 0x4f7ffffe, v2
	v_cvt_u32_f32_e32 v2, v2
	v_mul_lo_u32 v3, s12, v2
	v_mul_hi_u32 v3, v2, v3
	v_add_u32_e32 v2, v2, v3
	v_mul_hi_u32 v2, v0, v2
	v_mul_lo_u32 v3, v2, s10
	v_add_u32_e32 v4, 1, v2
	v_sub_u32_e32 v3, v0, v3
	v_subrev_u32_e32 v5, s10, v3
	v_cmp_le_u32_e32 vcc, s10, v3
	v_cndmask_b32_e32 v3, v3, v5, vcc
	v_cndmask_b32_e32 v2, v2, v4, vcc
	v_add_u32_e32 v4, 1, v2
	v_cmp_le_u32_e32 vcc, s10, v3
	v_cndmask_b32_e32 v4, v2, v4, vcc
	v_mov_b32_e32 v5, 0
.LBB47_5:
	s_or_b64 exec, exec, s[0:1]
	v_or_b32_e32 v3, s3, v5
	v_mov_b32_e32 v2, 0
	v_cmp_ne_u64_e32 vcc, 0, v[2:3]
                                        ; implicit-def: $vgpr2_vgpr3
	s_and_saveexec_b64 s[0:1], vcc
	s_xor_b64 s[12:13], exec, s[0:1]
	s_cbranch_execz .LBB47_7
; %bb.6:
	s_ashr_i32 s0, s3, 31
	s_add_u32 s14, s2, s0
	s_mov_b32 s1, s0
	s_addc_u32 s15, s3, s0
	s_xor_b64 s[14:15], s[14:15], s[0:1]
	v_cvt_f32_u32_e32 v2, s14
	v_cvt_f32_u32_e32 v3, s15
	s_sub_u32 s3, 0, s14
	s_subb_u32 s16, 0, s15
	v_ashrrev_i32_e32 v9, 31, v5
	v_madmk_f32 v2, v3, 0x4f800000, v2
	v_rcp_f32_e32 v2, v2
	v_mul_f32_e32 v2, 0x5f7ffffc, v2
	v_mul_f32_e32 v3, 0x2f800000, v2
	v_trunc_f32_e32 v3, v3
	v_madmk_f32 v2, v3, 0xcf800000, v2
	v_cvt_u32_f32_e32 v3, v3
	v_cvt_u32_f32_e32 v2, v2
	v_readfirstlane_b32 s17, v3
	v_readfirstlane_b32 s0, v2
	s_mul_i32 s1, s3, s17
	s_mul_hi_u32 s19, s3, s0
	s_mul_i32 s18, s16, s0
	s_add_i32 s1, s19, s1
	s_add_i32 s1, s1, s18
	s_mul_i32 s20, s3, s0
	s_mul_i32 s19, s0, s1
	s_mul_hi_u32 s21, s0, s20
	s_mul_hi_u32 s18, s0, s1
	s_add_u32 s19, s21, s19
	s_addc_u32 s18, 0, s18
	s_mul_hi_u32 s22, s17, s20
	s_mul_i32 s20, s17, s20
	s_add_u32 s19, s19, s20
	s_mul_hi_u32 s21, s17, s1
	s_addc_u32 s18, s18, s22
	s_addc_u32 s19, s21, 0
	s_mul_i32 s1, s17, s1
	s_add_u32 s1, s18, s1
	s_addc_u32 s18, 0, s19
	s_add_u32 s19, s0, s1
	s_cselect_b64 s[0:1], -1, 0
	s_cmp_lg_u64 s[0:1], 0
	s_addc_u32 s17, s17, s18
	s_mul_i32 s0, s3, s17
	s_mul_hi_u32 s1, s3, s19
	s_add_i32 s0, s1, s0
	s_mul_i32 s16, s16, s19
	s_add_i32 s0, s0, s16
	s_mul_i32 s3, s3, s19
	s_mul_hi_u32 s16, s17, s3
	s_mul_i32 s18, s17, s3
	s_mul_i32 s21, s19, s0
	s_mul_hi_u32 s3, s19, s3
	s_mul_hi_u32 s20, s19, s0
	s_add_u32 s3, s3, s21
	s_addc_u32 s20, 0, s20
	s_add_u32 s3, s3, s18
	s_mul_hi_u32 s1, s17, s0
	s_addc_u32 s3, s20, s16
	s_addc_u32 s1, s1, 0
	s_mul_i32 s0, s17, s0
	s_add_u32 s0, s3, s0
	s_addc_u32 s3, 0, s1
	s_add_u32 s16, s19, s0
	s_cselect_b64 s[0:1], -1, 0
	s_cmp_lg_u64 s[0:1], 0
	v_add_co_u32_e32 v2, vcc, v4, v9
	s_addc_u32 s3, s17, s3
	v_xor_b32_e32 v10, v2, v9
	v_mad_u64_u32 v[2:3], s[0:1], v10, s3, 0
	v_mul_hi_u32 v7, v10, s16
	v_addc_co_u32_e32 v6, vcc, v5, v9, vcc
	v_xor_b32_e32 v11, v6, v9
	v_add_co_u32_e32 v12, vcc, v7, v2
	v_addc_co_u32_e32 v13, vcc, 0, v3, vcc
	v_mad_u64_u32 v[2:3], s[0:1], v11, s16, 0
	v_mad_u64_u32 v[6:7], s[0:1], v11, s3, 0
	v_add_co_u32_e32 v2, vcc, v12, v2
	v_addc_co_u32_e32 v2, vcc, v13, v3, vcc
	v_addc_co_u32_e32 v3, vcc, 0, v7, vcc
	v_add_co_u32_e32 v2, vcc, v2, v6
	v_addc_co_u32_e32 v3, vcc, 0, v3, vcc
	v_mul_lo_u32 v6, s15, v2
	v_mul_lo_u32 v7, s14, v3
	v_mad_u64_u32 v[2:3], s[0:1], s14, v2, 0
	v_add3_u32 v3, v3, v7, v6
	v_sub_u32_e32 v6, v11, v3
	v_mov_b32_e32 v7, s15
	v_sub_co_u32_e32 v2, vcc, v10, v2
	v_subb_co_u32_e64 v6, s[0:1], v6, v7, vcc
	v_subrev_co_u32_e64 v7, s[0:1], s14, v2
	v_subbrev_co_u32_e64 v6, s[0:1], 0, v6, s[0:1]
	v_cmp_le_u32_e64 s[0:1], s15, v6
	v_subb_co_u32_e32 v3, vcc, v11, v3, vcc
	v_cndmask_b32_e64 v10, 0, -1, s[0:1]
	v_cmp_le_u32_e64 s[0:1], s14, v7
	v_cmp_le_u32_e32 vcc, s15, v3
	v_cndmask_b32_e64 v12, 0, -1, s[0:1]
	v_cmp_eq_u32_e64 s[0:1], s15, v6
	v_cndmask_b32_e64 v11, 0, -1, vcc
	v_cmp_le_u32_e32 vcc, s14, v2
	v_cndmask_b32_e64 v6, v10, v12, s[0:1]
	v_cndmask_b32_e64 v12, 0, -1, vcc
	v_cmp_eq_u32_e32 vcc, s15, v3
	v_subrev_co_u32_e64 v10, s[0:1], s14, v7
	v_cndmask_b32_e32 v3, v11, v12, vcc
	v_cmp_ne_u32_e32 vcc, 0, v6
	v_cndmask_b32_e32 v6, v7, v10, vcc
	v_cmp_ne_u32_e32 vcc, 0, v3
	v_cndmask_b32_e32 v2, v2, v6, vcc
	v_xor_b32_e32 v2, v2, v9
	v_sub_co_u32_e32 v2, vcc, v2, v9
.LBB47_7:
	s_andn2_saveexec_b64 s[0:1], s[12:13]
	s_cbranch_execz .LBB47_9
; %bb.8:
	v_cvt_f32_u32_e32 v2, s2
	s_sub_i32 s3, 0, s2
	v_rcp_iflag_f32_e32 v2, v2
	v_mul_f32_e32 v2, 0x4f7ffffe, v2
	v_cvt_u32_f32_e32 v2, v2
	v_mul_lo_u32 v3, s3, v2
	v_mul_hi_u32 v3, v2, v3
	v_add_u32_e32 v2, v2, v3
	v_mul_hi_u32 v2, v4, v2
	v_mul_lo_u32 v2, v2, s2
	v_sub_u32_e32 v2, v4, v2
	v_subrev_u32_e32 v3, s2, v2
	v_cmp_le_u32_e32 vcc, s2, v2
	v_cndmask_b32_e32 v2, v2, v3, vcc
	v_subrev_u32_e32 v3, s2, v2
	v_cmp_le_u32_e32 vcc, s2, v2
	v_cndmask_b32_e32 v2, v2, v3, vcc
.LBB47_9:
	s_or_b64 exec, exec, s[0:1]
	v_or_b32_e32 v7, s9, v1
	v_mov_b32_e32 v6, 0
	v_cmp_ne_u64_e32 vcc, 0, v[6:7]
                                        ; implicit-def: $vgpr6_vgpr7
	s_and_saveexec_b64 s[0:1], vcc
	s_xor_b64 s[2:3], exec, s[0:1]
	s_cbranch_execz .LBB47_11
; %bb.10:
	s_ashr_i32 s12, s9, 31
	s_add_u32 s0, s6, s12
	s_mov_b32 s13, s12
	s_addc_u32 s1, s9, s12
	s_xor_b64 s[14:15], s[0:1], s[12:13]
	v_cvt_f32_u32_e32 v3, s14
	v_cvt_f32_u32_e32 v6, s15
	s_sub_u32 s9, 0, s14
	s_subb_u32 s13, 0, s15
	v_madmk_f32 v3, v6, 0x4f800000, v3
	v_rcp_f32_e32 v3, v3
	v_mul_f32_e32 v3, 0x5f7ffffc, v3
	v_mul_f32_e32 v6, 0x2f800000, v3
	v_trunc_f32_e32 v6, v6
	v_madmk_f32 v3, v6, 0xcf800000, v3
	v_cvt_u32_f32_e32 v6, v6
	v_cvt_u32_f32_e32 v3, v3
	v_readfirstlane_b32 s16, v6
	v_readfirstlane_b32 s0, v3
	s_mul_i32 s1, s9, s16
	s_mul_hi_u32 s18, s9, s0
	s_mul_i32 s17, s13, s0
	s_add_i32 s1, s18, s1
	s_add_i32 s1, s1, s17
	s_mul_i32 s19, s9, s0
	s_mul_i32 s18, s0, s1
	s_mul_hi_u32 s20, s0, s19
	s_mul_hi_u32 s17, s0, s1
	s_add_u32 s18, s20, s18
	s_addc_u32 s17, 0, s17
	s_mul_hi_u32 s21, s16, s19
	s_mul_i32 s19, s16, s19
	s_add_u32 s18, s18, s19
	s_mul_hi_u32 s20, s16, s1
	s_addc_u32 s17, s17, s21
	s_addc_u32 s18, s20, 0
	s_mul_i32 s1, s16, s1
	s_add_u32 s1, s17, s1
	s_addc_u32 s17, 0, s18
	s_add_u32 s18, s0, s1
	s_cselect_b64 s[0:1], -1, 0
	s_cmp_lg_u64 s[0:1], 0
	s_addc_u32 s16, s16, s17
	s_mul_i32 s0, s9, s16
	s_mul_hi_u32 s1, s9, s18
	s_add_i32 s0, s1, s0
	s_mul_i32 s13, s13, s18
	s_add_i32 s0, s0, s13
	s_mul_i32 s9, s9, s18
	s_mul_hi_u32 s13, s16, s9
	s_mul_i32 s17, s16, s9
	s_mul_i32 s20, s18, s0
	s_mul_hi_u32 s9, s18, s9
	s_mul_hi_u32 s19, s18, s0
	s_add_u32 s9, s9, s20
	s_addc_u32 s19, 0, s19
	s_add_u32 s9, s9, s17
	s_mul_hi_u32 s1, s16, s0
	s_addc_u32 s9, s19, s13
	s_addc_u32 s1, s1, 0
	s_mul_i32 s0, s16, s0
	s_add_u32 s0, s9, s0
	s_addc_u32 s9, 0, s1
	s_add_u32 s13, s18, s0
	s_cselect_b64 s[0:1], -1, 0
	s_cmp_lg_u64 s[0:1], 0
	v_add_co_u32_e32 v3, vcc, v0, v8
	s_addc_u32 s9, s16, s9
	v_xor_b32_e32 v3, v3, v8
	v_mad_u64_u32 v[6:7], s[0:1], v3, s9, 0
	v_mul_hi_u32 v10, v3, s13
	v_addc_co_u32_e32 v9, vcc, v1, v8, vcc
	v_xor_b32_e32 v11, v9, v8
	v_add_co_u32_e32 v12, vcc, v10, v6
	v_addc_co_u32_e32 v13, vcc, 0, v7, vcc
	v_mad_u64_u32 v[6:7], s[0:1], v11, s13, 0
	v_mad_u64_u32 v[9:10], s[0:1], v11, s9, 0
	v_add_co_u32_e32 v6, vcc, v12, v6
	v_addc_co_u32_e32 v6, vcc, v13, v7, vcc
	v_addc_co_u32_e32 v7, vcc, 0, v10, vcc
	v_add_co_u32_e32 v9, vcc, v6, v9
	v_addc_co_u32_e32 v6, vcc, 0, v7, vcc
	v_mul_lo_u32 v10, s15, v9
	v_mul_lo_u32 v12, s14, v6
	v_mad_u64_u32 v[6:7], s[0:1], s14, v9, 0
	v_add3_u32 v7, v7, v12, v10
	v_sub_u32_e32 v10, v11, v7
	v_mov_b32_e32 v12, s15
	v_sub_co_u32_e32 v3, vcc, v3, v6
	v_subb_co_u32_e64 v6, s[0:1], v10, v12, vcc
	v_subrev_co_u32_e64 v10, s[0:1], s14, v3
	v_subbrev_co_u32_e64 v6, s[0:1], 0, v6, s[0:1]
	v_cmp_le_u32_e64 s[0:1], s15, v6
	v_subb_co_u32_e32 v7, vcc, v11, v7, vcc
	v_cndmask_b32_e64 v12, 0, -1, s[0:1]
	v_cmp_le_u32_e64 s[0:1], s14, v10
	v_cmp_le_u32_e32 vcc, s15, v7
	v_cndmask_b32_e64 v10, 0, -1, s[0:1]
	v_cmp_eq_u32_e64 s[0:1], s15, v6
	v_cndmask_b32_e64 v11, 0, -1, vcc
	v_cmp_le_u32_e32 vcc, s14, v3
	v_cndmask_b32_e64 v6, v12, v10, s[0:1]
	v_cndmask_b32_e64 v3, 0, -1, vcc
	v_cmp_eq_u32_e32 vcc, s15, v7
	v_add_co_u32_e64 v10, s[0:1], 2, v9
	v_add_co_u32_e64 v12, s[0:1], 1, v9
	v_cndmask_b32_e32 v3, v11, v3, vcc
	v_cmp_ne_u32_e32 vcc, 0, v6
	v_cndmask_b32_e32 v6, v12, v10, vcc
	v_cmp_ne_u32_e32 vcc, 0, v3
	v_cndmask_b32_e32 v3, v9, v6, vcc
	v_xor_b32_e32 v6, s12, v8
	v_xor_b32_e32 v3, v3, v6
	v_sub_co_u32_e32 v6, vcc, v3, v6
.LBB47_11:
	s_andn2_saveexec_b64 s[0:1], s[2:3]
	s_cbranch_execz .LBB47_13
; %bb.12:
	v_cvt_f32_u32_e32 v3, s6
	s_sub_i32 s2, 0, s6
	v_rcp_iflag_f32_e32 v3, v3
	v_mul_f32_e32 v3, 0x4f7ffffe, v3
	v_cvt_u32_f32_e32 v3, v3
	v_mul_lo_u32 v6, s2, v3
	v_mul_hi_u32 v6, v3, v6
	v_add_u32_e32 v3, v3, v6
	v_mul_hi_u32 v3, v0, v3
	v_mul_lo_u32 v6, v3, s6
	v_add_u32_e32 v7, 1, v3
	v_sub_u32_e32 v6, v0, v6
	v_subrev_u32_e32 v8, s6, v6
	v_cmp_le_u32_e32 vcc, s6, v6
	v_cndmask_b32_e32 v6, v6, v8, vcc
	v_cndmask_b32_e32 v3, v3, v7, vcc
	v_add_u32_e32 v7, 1, v3
	v_cmp_le_u32_e32 vcc, s6, v6
	v_cndmask_b32_e32 v6, v3, v7, vcc
.LBB47_13:
	s_or_b64 exec, exec, s[0:1]
	v_mul_lo_u32 v7, v4, s11
	v_mad_u64_u32 v[3:4], s[0:1], v4, s10, 0
	s_load_dwordx4 s[0:3], s[4:5], 0xb0
	s_load_dword s6, s[4:5], 0xc0
	v_mul_lo_u32 v5, v5, s10
	v_sub_co_u32_e32 v0, vcc, v0, v3
	s_waitcnt lgkmcnt(0)
	s_add_i32 s7, s3, s7
	s_add_i32 s6, s6, s8
	s_sub_i32 s8, 0, s1
	s_max_i32 s28, s8, 0
	s_sub_i32 s8, 0, s0
	s_max_i32 s29, s8, 0
	s_load_dwordx16 s[8:23], s[4:5], 0x18
	s_sub_i32 s3, 0, s2
	s_max_i32 s30, s2, 0
	v_max_i32_e32 v3, s2, v0
	s_max_i32 s3, s3, 0
	s_waitcnt lgkmcnt(0)
	s_add_i32 s2, s2, s12
	s_add_i32 s2, s2, -1
	v_min_i32_e32 v3, s2, v3
	s_sub_i32 s2, s3, s30
	v_add3_u32 v4, v4, v7, v5
	s_max_i32 s9, s1, 0
	v_add_u32_e32 v5, s2, v3
	v_max_i32_e32 v3, s1, v2
	s_add_i32 s1, s1, s10
	s_add_i32 s1, s1, -1
	v_min_i32_e32 v3, s1, v3
	s_sub_i32 s1, s28, s9
	s_max_i32 s11, s0, 0
	v_add_u32_e32 v7, s1, v3
	v_max_i32_e32 v3, s0, v6
	s_add_i32 s0, s0, s8
	s_add_i32 s0, s0, -1
	s_load_dwordx2 s[26:27], s[4:5], 0x0
	v_min_i32_e32 v3, s0, v3
	s_sub_i32 s0, s29, s11
	s_ashr_i32 s28, s6, 31
	v_add_u32_e32 v3, s0, v3
	s_mul_i32 s0, s14, s28
	s_mul_hi_u32 s1, s14, s6
	s_add_i32 s0, s1, s0
	s_mul_i32 s1, s15, s6
	s_add_i32 s1, s0, s1
	s_mul_i32 s0, s14, s6
	s_lshl_b64 s[0:1], s[0:1], 4
	s_waitcnt lgkmcnt(0)
	s_add_u32 s8, s26, s0
	s_addc_u32 s9, s27, s1
	s_ashr_i32 s26, s7, 31
	v_subb_co_u32_e32 v1, vcc, v1, v4, vcc
	s_mul_i32 s0, s16, s26
	s_mul_hi_u32 s1, s16, s7
	v_ashrrev_i32_e32 v4, 31, v3
	s_add_i32 s0, s1, s0
	s_mul_i32 s1, s17, s7
	v_mul_lo_u32 v8, s18, v4
	v_mul_lo_u32 v9, s19, v3
	v_mad_u64_u32 v[3:4], s[2:3], s18, v3, 0
	s_add_i32 s1, s0, s1
	s_mul_i32 s0, s16, s7
	s_lshl_b64 s[0:1], s[0:1], 4
	s_add_u32 s2, s8, s0
	s_addc_u32 s0, s9, s1
	v_add3_u32 v4, v4, v8, v9
	v_ashrrev_i32_e32 v8, 31, v7
	v_mov_b32_e32 v9, s0
	v_mul_lo_u32 v10, s20, v8
	v_mul_lo_u32 v11, s21, v7
	v_mad_u64_u32 v[7:8], s[0:1], s20, v7, 0
	v_lshlrev_b64 v[3:4], 4, v[3:4]
	s_load_dwordx2 s[24:25], s[4:5], 0xa8
	v_add_co_u32_e32 v12, vcc, s2, v3
	v_add3_u32 v8, v8, v10, v11
	v_addc_co_u32_e32 v9, vcc, v9, v4, vcc
	v_lshlrev_b64 v[3:4], 4, v[7:8]
	v_ashrrev_i32_e32 v7, 31, v5
	v_mul_lo_u32 v10, s22, v7
	v_mul_lo_u32 v11, s23, v5
	v_mad_u64_u32 v[7:8], s[0:1], s22, v5, 0
	v_add_co_u32_e32 v5, vcc, v12, v3
	v_add3_u32 v8, v8, v10, v11
	v_addc_co_u32_e32 v9, vcc, v9, v4, vcc
	v_lshlrev_b64 v[3:4], 4, v[7:8]
	v_add_co_u32_e32 v3, vcc, v5, v3
	v_addc_co_u32_e32 v4, vcc, v9, v4, vcc
	global_load_dwordx4 v[7:10], v[3:4], off
	s_load_dwordx8 s[8:15], s[4:5], 0x88
	s_load_dwordx2 s[0:1], s[4:5], 0x58
	v_ashrrev_i32_e32 v3, 31, v6
	s_waitcnt lgkmcnt(0)
	s_mul_i32 s2, s8, s28
	s_mul_hi_u32 s3, s8, s6
	s_add_i32 s2, s3, s2
	s_mul_i32 s3, s9, s6
	s_add_i32 s3, s2, s3
	s_mul_i32 s2, s8, s6
	s_lshl_b64 s[2:3], s[2:3], 4
	s_add_u32 s4, s0, s2
	s_addc_u32 s5, s1, s3
	s_mul_i32 s0, s10, s26
	s_mul_hi_u32 s1, s10, s7
	s_add_i32 s0, s1, s0
	s_mul_i32 s1, s11, s7
	v_mul_lo_u32 v5, s13, v6
	v_mul_lo_u32 v11, s12, v3
	v_mad_u64_u32 v[3:4], s[2:3], s12, v6, 0
	s_add_i32 s1, s0, s1
	s_mul_i32 s0, s10, s7
	s_lshl_b64 s[0:1], s[0:1], 4
	s_add_u32 s2, s4, s0
	s_addc_u32 s0, s5, s1
	v_add3_u32 v4, v4, v11, v5
	v_ashrrev_i32_e32 v5, 31, v2
	v_mov_b32_e32 v11, s0
	v_mul_lo_u32 v12, s15, v2
	v_mul_lo_u32 v13, s14, v5
	v_mad_u64_u32 v[5:6], s[0:1], s14, v2, 0
	v_lshlrev_b64 v[3:4], 4, v[3:4]
	v_add3_u32 v6, v6, v13, v12
	v_add_co_u32_e32 v14, vcc, s2, v3
	v_lshlrev_b64 v[2:3], 4, v[5:6]
	v_mul_lo_u32 v5, s25, v0
	v_mul_lo_u32 v6, s24, v1
	v_mad_u64_u32 v[0:1], s[0:1], s24, v0, 0
	v_addc_co_u32_e32 v4, vcc, v11, v4, vcc
	v_add3_u32 v1, v1, v6, v5
	v_add_co_u32_e32 v2, vcc, v14, v2
	v_lshlrev_b64 v[0:1], 4, v[0:1]
	v_addc_co_u32_e32 v3, vcc, v4, v3, vcc
	v_add_co_u32_e32 v0, vcc, v2, v0
	v_addc_co_u32_e32 v1, vcc, v3, v1, vcc
	s_waitcnt vmcnt(0)
	global_store_dwordx4 v[0:1], v[7:10], off
.LBB47_14:
	s_endpgm
	.section	.rodata,"a",@progbits
	.p2align	6, 0x0
	.amdhsa_kernel _ZN2at6native12_GLOBAL__N_132replication_pad_forward_kernel3dIN3c107complexIdEEEEvN5torch10headeronly6detail27GenericPackedTensorAccessorINS8_14TensorAccessorINS3_8ArrayRefIlEEKT_Lm4ENS7_16DefaultPtrTraitsElEENS_6detail16IndexBoundsCheckILm5ElEESE_Lm5ESF_lEENS9_INSA_ISC_SD_Lm4ESF_lEESJ_SD_Lm5ESF_lEEiiiii
		.amdhsa_group_segment_fixed_size 0
		.amdhsa_private_segment_fixed_size 0
		.amdhsa_kernarg_size 456
		.amdhsa_user_sgpr_count 6
		.amdhsa_user_sgpr_private_segment_buffer 1
		.amdhsa_user_sgpr_dispatch_ptr 0
		.amdhsa_user_sgpr_queue_ptr 0
		.amdhsa_user_sgpr_kernarg_segment_ptr 1
		.amdhsa_user_sgpr_dispatch_id 0
		.amdhsa_user_sgpr_flat_scratch_init 0
		.amdhsa_user_sgpr_private_segment_size 0
		.amdhsa_uses_dynamic_stack 0
		.amdhsa_system_sgpr_private_segment_wavefront_offset 0
		.amdhsa_system_sgpr_workgroup_id_x 1
		.amdhsa_system_sgpr_workgroup_id_y 1
		.amdhsa_system_sgpr_workgroup_id_z 1
		.amdhsa_system_sgpr_workgroup_info 0
		.amdhsa_system_vgpr_workitem_id 0
		.amdhsa_next_free_vgpr 15
		.amdhsa_next_free_sgpr 31
		.amdhsa_reserve_vcc 1
		.amdhsa_reserve_flat_scratch 0
		.amdhsa_float_round_mode_32 0
		.amdhsa_float_round_mode_16_64 0
		.amdhsa_float_denorm_mode_32 3
		.amdhsa_float_denorm_mode_16_64 3
		.amdhsa_dx10_clamp 1
		.amdhsa_ieee_mode 1
		.amdhsa_fp16_overflow 0
		.amdhsa_exception_fp_ieee_invalid_op 0
		.amdhsa_exception_fp_denorm_src 0
		.amdhsa_exception_fp_ieee_div_zero 0
		.amdhsa_exception_fp_ieee_overflow 0
		.amdhsa_exception_fp_ieee_underflow 0
		.amdhsa_exception_fp_ieee_inexact 0
		.amdhsa_exception_int_div_zero 0
	.end_amdhsa_kernel
	.section	.text._ZN2at6native12_GLOBAL__N_132replication_pad_forward_kernel3dIN3c107complexIdEEEEvN5torch10headeronly6detail27GenericPackedTensorAccessorINS8_14TensorAccessorINS3_8ArrayRefIlEEKT_Lm4ENS7_16DefaultPtrTraitsElEENS_6detail16IndexBoundsCheckILm5ElEESE_Lm5ESF_lEENS9_INSA_ISC_SD_Lm4ESF_lEESJ_SD_Lm5ESF_lEEiiiii,"axG",@progbits,_ZN2at6native12_GLOBAL__N_132replication_pad_forward_kernel3dIN3c107complexIdEEEEvN5torch10headeronly6detail27GenericPackedTensorAccessorINS8_14TensorAccessorINS3_8ArrayRefIlEEKT_Lm4ENS7_16DefaultPtrTraitsElEENS_6detail16IndexBoundsCheckILm5ElEESE_Lm5ESF_lEENS9_INSA_ISC_SD_Lm4ESF_lEESJ_SD_Lm5ESF_lEEiiiii,comdat
.Lfunc_end47:
	.size	_ZN2at6native12_GLOBAL__N_132replication_pad_forward_kernel3dIN3c107complexIdEEEEvN5torch10headeronly6detail27GenericPackedTensorAccessorINS8_14TensorAccessorINS3_8ArrayRefIlEEKT_Lm4ENS7_16DefaultPtrTraitsElEENS_6detail16IndexBoundsCheckILm5ElEESE_Lm5ESF_lEENS9_INSA_ISC_SD_Lm4ESF_lEESJ_SD_Lm5ESF_lEEiiiii, .Lfunc_end47-_ZN2at6native12_GLOBAL__N_132replication_pad_forward_kernel3dIN3c107complexIdEEEEvN5torch10headeronly6detail27GenericPackedTensorAccessorINS8_14TensorAccessorINS3_8ArrayRefIlEEKT_Lm4ENS7_16DefaultPtrTraitsElEENS_6detail16IndexBoundsCheckILm5ElEESE_Lm5ESF_lEENS9_INSA_ISC_SD_Lm4ESF_lEESJ_SD_Lm5ESF_lEEiiiii
                                        ; -- End function
	.set _ZN2at6native12_GLOBAL__N_132replication_pad_forward_kernel3dIN3c107complexIdEEEEvN5torch10headeronly6detail27GenericPackedTensorAccessorINS8_14TensorAccessorINS3_8ArrayRefIlEEKT_Lm4ENS7_16DefaultPtrTraitsElEENS_6detail16IndexBoundsCheckILm5ElEESE_Lm5ESF_lEENS9_INSA_ISC_SD_Lm4ESF_lEESJ_SD_Lm5ESF_lEEiiiii.num_vgpr, 15
	.set _ZN2at6native12_GLOBAL__N_132replication_pad_forward_kernel3dIN3c107complexIdEEEEvN5torch10headeronly6detail27GenericPackedTensorAccessorINS8_14TensorAccessorINS3_8ArrayRefIlEEKT_Lm4ENS7_16DefaultPtrTraitsElEENS_6detail16IndexBoundsCheckILm5ElEESE_Lm5ESF_lEENS9_INSA_ISC_SD_Lm4ESF_lEESJ_SD_Lm5ESF_lEEiiiii.num_agpr, 0
	.set _ZN2at6native12_GLOBAL__N_132replication_pad_forward_kernel3dIN3c107complexIdEEEEvN5torch10headeronly6detail27GenericPackedTensorAccessorINS8_14TensorAccessorINS3_8ArrayRefIlEEKT_Lm4ENS7_16DefaultPtrTraitsElEENS_6detail16IndexBoundsCheckILm5ElEESE_Lm5ESF_lEENS9_INSA_ISC_SD_Lm4ESF_lEESJ_SD_Lm5ESF_lEEiiiii.numbered_sgpr, 31
	.set _ZN2at6native12_GLOBAL__N_132replication_pad_forward_kernel3dIN3c107complexIdEEEEvN5torch10headeronly6detail27GenericPackedTensorAccessorINS8_14TensorAccessorINS3_8ArrayRefIlEEKT_Lm4ENS7_16DefaultPtrTraitsElEENS_6detail16IndexBoundsCheckILm5ElEESE_Lm5ESF_lEENS9_INSA_ISC_SD_Lm4ESF_lEESJ_SD_Lm5ESF_lEEiiiii.num_named_barrier, 0
	.set _ZN2at6native12_GLOBAL__N_132replication_pad_forward_kernel3dIN3c107complexIdEEEEvN5torch10headeronly6detail27GenericPackedTensorAccessorINS8_14TensorAccessorINS3_8ArrayRefIlEEKT_Lm4ENS7_16DefaultPtrTraitsElEENS_6detail16IndexBoundsCheckILm5ElEESE_Lm5ESF_lEENS9_INSA_ISC_SD_Lm4ESF_lEESJ_SD_Lm5ESF_lEEiiiii.private_seg_size, 0
	.set _ZN2at6native12_GLOBAL__N_132replication_pad_forward_kernel3dIN3c107complexIdEEEEvN5torch10headeronly6detail27GenericPackedTensorAccessorINS8_14TensorAccessorINS3_8ArrayRefIlEEKT_Lm4ENS7_16DefaultPtrTraitsElEENS_6detail16IndexBoundsCheckILm5ElEESE_Lm5ESF_lEENS9_INSA_ISC_SD_Lm4ESF_lEESJ_SD_Lm5ESF_lEEiiiii.uses_vcc, 1
	.set _ZN2at6native12_GLOBAL__N_132replication_pad_forward_kernel3dIN3c107complexIdEEEEvN5torch10headeronly6detail27GenericPackedTensorAccessorINS8_14TensorAccessorINS3_8ArrayRefIlEEKT_Lm4ENS7_16DefaultPtrTraitsElEENS_6detail16IndexBoundsCheckILm5ElEESE_Lm5ESF_lEENS9_INSA_ISC_SD_Lm4ESF_lEESJ_SD_Lm5ESF_lEEiiiii.uses_flat_scratch, 0
	.set _ZN2at6native12_GLOBAL__N_132replication_pad_forward_kernel3dIN3c107complexIdEEEEvN5torch10headeronly6detail27GenericPackedTensorAccessorINS8_14TensorAccessorINS3_8ArrayRefIlEEKT_Lm4ENS7_16DefaultPtrTraitsElEENS_6detail16IndexBoundsCheckILm5ElEESE_Lm5ESF_lEENS9_INSA_ISC_SD_Lm4ESF_lEESJ_SD_Lm5ESF_lEEiiiii.has_dyn_sized_stack, 0
	.set _ZN2at6native12_GLOBAL__N_132replication_pad_forward_kernel3dIN3c107complexIdEEEEvN5torch10headeronly6detail27GenericPackedTensorAccessorINS8_14TensorAccessorINS3_8ArrayRefIlEEKT_Lm4ENS7_16DefaultPtrTraitsElEENS_6detail16IndexBoundsCheckILm5ElEESE_Lm5ESF_lEENS9_INSA_ISC_SD_Lm4ESF_lEESJ_SD_Lm5ESF_lEEiiiii.has_recursion, 0
	.set _ZN2at6native12_GLOBAL__N_132replication_pad_forward_kernel3dIN3c107complexIdEEEEvN5torch10headeronly6detail27GenericPackedTensorAccessorINS8_14TensorAccessorINS3_8ArrayRefIlEEKT_Lm4ENS7_16DefaultPtrTraitsElEENS_6detail16IndexBoundsCheckILm5ElEESE_Lm5ESF_lEENS9_INSA_ISC_SD_Lm4ESF_lEESJ_SD_Lm5ESF_lEEiiiii.has_indirect_call, 0
	.section	.AMDGPU.csdata,"",@progbits
; Kernel info:
; codeLenInByte = 2952
; TotalNumSgprs: 35
; NumVgprs: 15
; ScratchSize: 0
; MemoryBound: 0
; FloatMode: 240
; IeeeMode: 1
; LDSByteSize: 0 bytes/workgroup (compile time only)
; SGPRBlocks: 4
; VGPRBlocks: 3
; NumSGPRsForWavesPerEU: 35
; NumVGPRsForWavesPerEU: 15
; Occupancy: 10
; WaveLimiterHint : 1
; COMPUTE_PGM_RSRC2:SCRATCH_EN: 0
; COMPUTE_PGM_RSRC2:USER_SGPR: 6
; COMPUTE_PGM_RSRC2:TRAP_HANDLER: 0
; COMPUTE_PGM_RSRC2:TGID_X_EN: 1
; COMPUTE_PGM_RSRC2:TGID_Y_EN: 1
; COMPUTE_PGM_RSRC2:TGID_Z_EN: 1
; COMPUTE_PGM_RSRC2:TIDIG_COMP_CNT: 0
	.section	.text._ZN2at6native12_GLOBAL__N_132replication_pad_forward_kernel3dIN3c107complexIfEEEEvN5torch10headeronly6detail27GenericPackedTensorAccessorINS8_14TensorAccessorINS3_8ArrayRefIlEEKT_Lm4ENS7_16DefaultPtrTraitsElEENS_6detail16IndexBoundsCheckILm5ElEESE_Lm5ESF_lEENS9_INSA_ISC_SD_Lm4ESF_lEESJ_SD_Lm5ESF_lEEiiiii,"axG",@progbits,_ZN2at6native12_GLOBAL__N_132replication_pad_forward_kernel3dIN3c107complexIfEEEEvN5torch10headeronly6detail27GenericPackedTensorAccessorINS8_14TensorAccessorINS3_8ArrayRefIlEEKT_Lm4ENS7_16DefaultPtrTraitsElEENS_6detail16IndexBoundsCheckILm5ElEESE_Lm5ESF_lEENS9_INSA_ISC_SD_Lm4ESF_lEESJ_SD_Lm5ESF_lEEiiiii,comdat
	.globl	_ZN2at6native12_GLOBAL__N_132replication_pad_forward_kernel3dIN3c107complexIfEEEEvN5torch10headeronly6detail27GenericPackedTensorAccessorINS8_14TensorAccessorINS3_8ArrayRefIlEEKT_Lm4ENS7_16DefaultPtrTraitsElEENS_6detail16IndexBoundsCheckILm5ElEESE_Lm5ESF_lEENS9_INSA_ISC_SD_Lm4ESF_lEESJ_SD_Lm5ESF_lEEiiiii ; -- Begin function _ZN2at6native12_GLOBAL__N_132replication_pad_forward_kernel3dIN3c107complexIfEEEEvN5torch10headeronly6detail27GenericPackedTensorAccessorINS8_14TensorAccessorINS3_8ArrayRefIlEEKT_Lm4ENS7_16DefaultPtrTraitsElEENS_6detail16IndexBoundsCheckILm5ElEESE_Lm5ESF_lEENS9_INSA_ISC_SD_Lm4ESF_lEESJ_SD_Lm5ESF_lEEiiiii
	.p2align	8
	.type	_ZN2at6native12_GLOBAL__N_132replication_pad_forward_kernel3dIN3c107complexIfEEEEvN5torch10headeronly6detail27GenericPackedTensorAccessorINS8_14TensorAccessorINS3_8ArrayRefIlEEKT_Lm4ENS7_16DefaultPtrTraitsElEENS_6detail16IndexBoundsCheckILm5ElEESE_Lm5ESF_lEENS9_INSA_ISC_SD_Lm4ESF_lEESJ_SD_Lm5ESF_lEEiiiii,@function
_ZN2at6native12_GLOBAL__N_132replication_pad_forward_kernel3dIN3c107complexIfEEEEvN5torch10headeronly6detail27GenericPackedTensorAccessorINS8_14TensorAccessorINS3_8ArrayRefIlEEKT_Lm4ENS7_16DefaultPtrTraitsElEENS_6detail16IndexBoundsCheckILm5ElEESE_Lm5ESF_lEENS9_INSA_ISC_SD_Lm4ESF_lEESJ_SD_Lm5ESF_lEEiiiii: ; @_ZN2at6native12_GLOBAL__N_132replication_pad_forward_kernel3dIN3c107complexIfEEEEvN5torch10headeronly6detail27GenericPackedTensorAccessorINS8_14TensorAccessorINS3_8ArrayRefIlEEKT_Lm4ENS7_16DefaultPtrTraitsElEENS_6detail16IndexBoundsCheckILm5ElEESE_Lm5ESF_lEENS9_INSA_ISC_SD_Lm4ESF_lEESJ_SD_Lm5ESF_lEEiiiii
; %bb.0:
	s_load_dword s9, s[4:5], 0xd4
	s_load_dwordx4 s[0:3], s[4:5], 0x70
	s_load_dwordx2 s[10:11], s[4:5], 0x80
	s_waitcnt lgkmcnt(0)
	s_and_b32 s9, s9, 0xffff
	s_mul_i32 s6, s6, s9
	v_add_u32_e32 v0, s6, v0
	s_mul_i32 s6, s10, s3
	s_mul_hi_u32 s9, s10, s2
	s_add_i32 s9, s9, s6
	s_mul_i32 s6, s11, s2
	s_add_i32 s9, s9, s6
	s_mul_i32 s6, s10, s2
	s_mul_i32 s1, s6, s1
	s_mul_hi_u32 s12, s6, s0
	s_add_i32 s1, s12, s1
	s_mul_i32 s12, s9, s0
	v_ashrrev_i32_e32 v1, 31, v0
	s_add_i32 s1, s1, s12
	s_mul_i32 s0, s6, s0
	v_cmp_gt_i64_e32 vcc, s[0:1], v[0:1]
	s_and_saveexec_b64 s[0:1], vcc
	s_cbranch_execz .LBB48_14
; %bb.1:
	v_or_b32_e32 v3, s11, v1
	v_mov_b32_e32 v2, 0
	v_cmp_ne_u64_e32 vcc, 0, v[2:3]
	v_ashrrev_i32_e32 v8, 31, v1
                                        ; implicit-def: $vgpr4_vgpr5
	s_and_saveexec_b64 s[0:1], vcc
	s_xor_b64 s[12:13], exec, s[0:1]
	s_cbranch_execz .LBB48_3
; %bb.2:
	s_ashr_i32 s14, s11, 31
	s_add_u32 s0, s10, s14
	s_mov_b32 s15, s14
	s_addc_u32 s1, s11, s14
	s_xor_b64 s[16:17], s[0:1], s[14:15]
	v_cvt_f32_u32_e32 v2, s16
	v_cvt_f32_u32_e32 v3, s17
	s_sub_u32 s15, 0, s16
	s_subb_u32 s18, 0, s17
	v_madmk_f32 v2, v3, 0x4f800000, v2
	v_rcp_f32_e32 v2, v2
	v_mul_f32_e32 v2, 0x5f7ffffc, v2
	v_mul_f32_e32 v3, 0x2f800000, v2
	v_trunc_f32_e32 v3, v3
	v_madmk_f32 v2, v3, 0xcf800000, v2
	v_cvt_u32_f32_e32 v3, v3
	v_cvt_u32_f32_e32 v2, v2
	v_readfirstlane_b32 s19, v3
	v_readfirstlane_b32 s0, v2
	s_mul_i32 s1, s15, s19
	s_mul_hi_u32 s21, s15, s0
	s_mul_i32 s20, s18, s0
	s_add_i32 s1, s21, s1
	s_add_i32 s1, s1, s20
	s_mul_i32 s22, s15, s0
	s_mul_i32 s21, s0, s1
	s_mul_hi_u32 s23, s0, s22
	s_mul_hi_u32 s20, s0, s1
	s_add_u32 s21, s23, s21
	s_addc_u32 s20, 0, s20
	s_mul_hi_u32 s24, s19, s22
	s_mul_i32 s22, s19, s22
	s_add_u32 s21, s21, s22
	s_mul_hi_u32 s23, s19, s1
	s_addc_u32 s20, s20, s24
	s_addc_u32 s21, s23, 0
	s_mul_i32 s1, s19, s1
	s_add_u32 s1, s20, s1
	s_addc_u32 s20, 0, s21
	s_add_u32 s21, s0, s1
	s_cselect_b64 s[0:1], -1, 0
	s_cmp_lg_u64 s[0:1], 0
	s_addc_u32 s19, s19, s20
	s_mul_i32 s0, s15, s19
	s_mul_hi_u32 s1, s15, s21
	s_add_i32 s0, s1, s0
	s_mul_i32 s18, s18, s21
	s_add_i32 s0, s0, s18
	s_mul_i32 s15, s15, s21
	s_mul_hi_u32 s18, s19, s15
	s_mul_i32 s20, s19, s15
	s_mul_i32 s23, s21, s0
	s_mul_hi_u32 s15, s21, s15
	s_mul_hi_u32 s22, s21, s0
	s_add_u32 s15, s15, s23
	s_addc_u32 s22, 0, s22
	s_add_u32 s15, s15, s20
	s_mul_hi_u32 s1, s19, s0
	s_addc_u32 s15, s22, s18
	s_addc_u32 s1, s1, 0
	s_mul_i32 s0, s19, s0
	s_add_u32 s0, s15, s0
	s_addc_u32 s15, 0, s1
	s_add_u32 s18, s21, s0
	s_cselect_b64 s[0:1], -1, 0
	s_cmp_lg_u64 s[0:1], 0
	v_add_co_u32_e32 v2, vcc, v0, v8
	s_addc_u32 s15, s19, s15
	v_xor_b32_e32 v6, v2, v8
	v_mad_u64_u32 v[2:3], s[0:1], v6, s15, 0
	v_mul_hi_u32 v5, v6, s18
	v_addc_co_u32_e32 v4, vcc, v1, v8, vcc
	v_xor_b32_e32 v7, v4, v8
	v_add_co_u32_e32 v9, vcc, v5, v2
	v_addc_co_u32_e32 v10, vcc, 0, v3, vcc
	v_mad_u64_u32 v[2:3], s[0:1], v7, s18, 0
	v_mad_u64_u32 v[4:5], s[0:1], v7, s15, 0
	v_add_co_u32_e32 v2, vcc, v9, v2
	v_addc_co_u32_e32 v2, vcc, v10, v3, vcc
	v_addc_co_u32_e32 v3, vcc, 0, v5, vcc
	v_add_co_u32_e32 v4, vcc, v2, v4
	v_addc_co_u32_e32 v5, vcc, 0, v3, vcc
	v_mul_lo_u32 v9, s17, v4
	v_mul_lo_u32 v10, s16, v5
	v_mad_u64_u32 v[2:3], s[0:1], s16, v4, 0
	v_add3_u32 v3, v3, v10, v9
	v_sub_u32_e32 v9, v7, v3
	v_mov_b32_e32 v10, s17
	v_sub_co_u32_e32 v2, vcc, v6, v2
	v_subb_co_u32_e64 v6, s[0:1], v9, v10, vcc
	v_subrev_co_u32_e64 v9, s[0:1], s16, v2
	v_subbrev_co_u32_e64 v6, s[0:1], 0, v6, s[0:1]
	v_cmp_le_u32_e64 s[0:1], s17, v6
	v_cndmask_b32_e64 v10, 0, -1, s[0:1]
	v_cmp_le_u32_e64 s[0:1], s16, v9
	v_cndmask_b32_e64 v9, 0, -1, s[0:1]
	v_cmp_eq_u32_e64 s[0:1], s17, v6
	v_cndmask_b32_e64 v6, v10, v9, s[0:1]
	v_add_co_u32_e64 v9, s[0:1], 2, v4
	v_subb_co_u32_e32 v3, vcc, v7, v3, vcc
	v_addc_co_u32_e64 v10, s[0:1], 0, v5, s[0:1]
	v_cmp_le_u32_e32 vcc, s17, v3
	v_add_co_u32_e64 v11, s[0:1], 1, v4
	v_cndmask_b32_e64 v7, 0, -1, vcc
	v_cmp_le_u32_e32 vcc, s16, v2
	v_addc_co_u32_e64 v12, s[0:1], 0, v5, s[0:1]
	v_cndmask_b32_e64 v2, 0, -1, vcc
	v_cmp_eq_u32_e32 vcc, s17, v3
	v_cmp_ne_u32_e64 s[0:1], 0, v6
	v_cndmask_b32_e32 v2, v7, v2, vcc
	v_cndmask_b32_e64 v6, v12, v10, s[0:1]
	v_cmp_ne_u32_e32 vcc, 0, v2
	v_cndmask_b32_e64 v3, v11, v9, s[0:1]
	v_cndmask_b32_e32 v2, v5, v6, vcc
	v_cndmask_b32_e32 v3, v4, v3, vcc
	v_xor_b32_e32 v5, s14, v8
	v_xor_b32_e32 v3, v3, v5
	;; [unrolled: 1-line block ×3, first 2 shown]
	v_sub_co_u32_e32 v4, vcc, v3, v5
	v_subb_co_u32_e32 v5, vcc, v2, v5, vcc
.LBB48_3:
	s_andn2_saveexec_b64 s[0:1], s[12:13]
	s_cbranch_execz .LBB48_5
; %bb.4:
	v_cvt_f32_u32_e32 v2, s10
	s_sub_i32 s12, 0, s10
	v_rcp_iflag_f32_e32 v2, v2
	v_mul_f32_e32 v2, 0x4f7ffffe, v2
	v_cvt_u32_f32_e32 v2, v2
	v_mul_lo_u32 v3, s12, v2
	v_mul_hi_u32 v3, v2, v3
	v_add_u32_e32 v2, v2, v3
	v_mul_hi_u32 v2, v0, v2
	v_mul_lo_u32 v3, v2, s10
	v_add_u32_e32 v4, 1, v2
	v_sub_u32_e32 v3, v0, v3
	v_subrev_u32_e32 v5, s10, v3
	v_cmp_le_u32_e32 vcc, s10, v3
	v_cndmask_b32_e32 v3, v3, v5, vcc
	v_cndmask_b32_e32 v2, v2, v4, vcc
	v_add_u32_e32 v4, 1, v2
	v_cmp_le_u32_e32 vcc, s10, v3
	v_cndmask_b32_e32 v4, v2, v4, vcc
	v_mov_b32_e32 v5, 0
.LBB48_5:
	s_or_b64 exec, exec, s[0:1]
	v_or_b32_e32 v3, s3, v5
	v_mov_b32_e32 v2, 0
	v_cmp_ne_u64_e32 vcc, 0, v[2:3]
                                        ; implicit-def: $vgpr2_vgpr3
	s_and_saveexec_b64 s[0:1], vcc
	s_xor_b64 s[12:13], exec, s[0:1]
	s_cbranch_execz .LBB48_7
; %bb.6:
	s_ashr_i32 s0, s3, 31
	s_add_u32 s14, s2, s0
	s_mov_b32 s1, s0
	s_addc_u32 s15, s3, s0
	s_xor_b64 s[14:15], s[14:15], s[0:1]
	v_cvt_f32_u32_e32 v2, s14
	v_cvt_f32_u32_e32 v3, s15
	s_sub_u32 s3, 0, s14
	s_subb_u32 s16, 0, s15
	v_ashrrev_i32_e32 v9, 31, v5
	v_madmk_f32 v2, v3, 0x4f800000, v2
	v_rcp_f32_e32 v2, v2
	v_mul_f32_e32 v2, 0x5f7ffffc, v2
	v_mul_f32_e32 v3, 0x2f800000, v2
	v_trunc_f32_e32 v3, v3
	v_madmk_f32 v2, v3, 0xcf800000, v2
	v_cvt_u32_f32_e32 v3, v3
	v_cvt_u32_f32_e32 v2, v2
	v_readfirstlane_b32 s17, v3
	v_readfirstlane_b32 s0, v2
	s_mul_i32 s1, s3, s17
	s_mul_hi_u32 s19, s3, s0
	s_mul_i32 s18, s16, s0
	s_add_i32 s1, s19, s1
	s_add_i32 s1, s1, s18
	s_mul_i32 s20, s3, s0
	s_mul_i32 s19, s0, s1
	s_mul_hi_u32 s21, s0, s20
	s_mul_hi_u32 s18, s0, s1
	s_add_u32 s19, s21, s19
	s_addc_u32 s18, 0, s18
	s_mul_hi_u32 s22, s17, s20
	s_mul_i32 s20, s17, s20
	s_add_u32 s19, s19, s20
	s_mul_hi_u32 s21, s17, s1
	s_addc_u32 s18, s18, s22
	s_addc_u32 s19, s21, 0
	s_mul_i32 s1, s17, s1
	s_add_u32 s1, s18, s1
	s_addc_u32 s18, 0, s19
	s_add_u32 s19, s0, s1
	s_cselect_b64 s[0:1], -1, 0
	s_cmp_lg_u64 s[0:1], 0
	s_addc_u32 s17, s17, s18
	s_mul_i32 s0, s3, s17
	s_mul_hi_u32 s1, s3, s19
	s_add_i32 s0, s1, s0
	s_mul_i32 s16, s16, s19
	s_add_i32 s0, s0, s16
	s_mul_i32 s3, s3, s19
	s_mul_hi_u32 s16, s17, s3
	s_mul_i32 s18, s17, s3
	s_mul_i32 s21, s19, s0
	s_mul_hi_u32 s3, s19, s3
	s_mul_hi_u32 s20, s19, s0
	s_add_u32 s3, s3, s21
	s_addc_u32 s20, 0, s20
	s_add_u32 s3, s3, s18
	s_mul_hi_u32 s1, s17, s0
	s_addc_u32 s3, s20, s16
	s_addc_u32 s1, s1, 0
	s_mul_i32 s0, s17, s0
	s_add_u32 s0, s3, s0
	s_addc_u32 s3, 0, s1
	s_add_u32 s16, s19, s0
	s_cselect_b64 s[0:1], -1, 0
	s_cmp_lg_u64 s[0:1], 0
	v_add_co_u32_e32 v2, vcc, v4, v9
	s_addc_u32 s3, s17, s3
	v_xor_b32_e32 v10, v2, v9
	v_mad_u64_u32 v[2:3], s[0:1], v10, s3, 0
	v_mul_hi_u32 v7, v10, s16
	v_addc_co_u32_e32 v6, vcc, v5, v9, vcc
	v_xor_b32_e32 v11, v6, v9
	v_add_co_u32_e32 v12, vcc, v7, v2
	v_addc_co_u32_e32 v13, vcc, 0, v3, vcc
	v_mad_u64_u32 v[2:3], s[0:1], v11, s16, 0
	v_mad_u64_u32 v[6:7], s[0:1], v11, s3, 0
	v_add_co_u32_e32 v2, vcc, v12, v2
	v_addc_co_u32_e32 v2, vcc, v13, v3, vcc
	v_addc_co_u32_e32 v3, vcc, 0, v7, vcc
	v_add_co_u32_e32 v2, vcc, v2, v6
	v_addc_co_u32_e32 v3, vcc, 0, v3, vcc
	v_mul_lo_u32 v6, s15, v2
	v_mul_lo_u32 v7, s14, v3
	v_mad_u64_u32 v[2:3], s[0:1], s14, v2, 0
	v_add3_u32 v3, v3, v7, v6
	v_sub_u32_e32 v6, v11, v3
	v_mov_b32_e32 v7, s15
	v_sub_co_u32_e32 v2, vcc, v10, v2
	v_subb_co_u32_e64 v6, s[0:1], v6, v7, vcc
	v_subrev_co_u32_e64 v7, s[0:1], s14, v2
	v_subbrev_co_u32_e64 v6, s[0:1], 0, v6, s[0:1]
	v_cmp_le_u32_e64 s[0:1], s15, v6
	v_subb_co_u32_e32 v3, vcc, v11, v3, vcc
	v_cndmask_b32_e64 v10, 0, -1, s[0:1]
	v_cmp_le_u32_e64 s[0:1], s14, v7
	v_cmp_le_u32_e32 vcc, s15, v3
	v_cndmask_b32_e64 v12, 0, -1, s[0:1]
	v_cmp_eq_u32_e64 s[0:1], s15, v6
	v_cndmask_b32_e64 v11, 0, -1, vcc
	v_cmp_le_u32_e32 vcc, s14, v2
	v_cndmask_b32_e64 v6, v10, v12, s[0:1]
	v_cndmask_b32_e64 v12, 0, -1, vcc
	v_cmp_eq_u32_e32 vcc, s15, v3
	v_subrev_co_u32_e64 v10, s[0:1], s14, v7
	v_cndmask_b32_e32 v3, v11, v12, vcc
	v_cmp_ne_u32_e32 vcc, 0, v6
	v_cndmask_b32_e32 v6, v7, v10, vcc
	v_cmp_ne_u32_e32 vcc, 0, v3
	v_cndmask_b32_e32 v2, v2, v6, vcc
	v_xor_b32_e32 v2, v2, v9
	v_sub_co_u32_e32 v2, vcc, v2, v9
.LBB48_7:
	s_andn2_saveexec_b64 s[0:1], s[12:13]
	s_cbranch_execz .LBB48_9
; %bb.8:
	v_cvt_f32_u32_e32 v2, s2
	s_sub_i32 s3, 0, s2
	v_rcp_iflag_f32_e32 v2, v2
	v_mul_f32_e32 v2, 0x4f7ffffe, v2
	v_cvt_u32_f32_e32 v2, v2
	v_mul_lo_u32 v3, s3, v2
	v_mul_hi_u32 v3, v2, v3
	v_add_u32_e32 v2, v2, v3
	v_mul_hi_u32 v2, v4, v2
	v_mul_lo_u32 v2, v2, s2
	v_sub_u32_e32 v2, v4, v2
	v_subrev_u32_e32 v3, s2, v2
	v_cmp_le_u32_e32 vcc, s2, v2
	v_cndmask_b32_e32 v2, v2, v3, vcc
	v_subrev_u32_e32 v3, s2, v2
	v_cmp_le_u32_e32 vcc, s2, v2
	v_cndmask_b32_e32 v2, v2, v3, vcc
.LBB48_9:
	s_or_b64 exec, exec, s[0:1]
	v_or_b32_e32 v7, s9, v1
	v_mov_b32_e32 v6, 0
	v_cmp_ne_u64_e32 vcc, 0, v[6:7]
                                        ; implicit-def: $vgpr6_vgpr7
	s_and_saveexec_b64 s[0:1], vcc
	s_xor_b64 s[2:3], exec, s[0:1]
	s_cbranch_execz .LBB48_11
; %bb.10:
	s_ashr_i32 s12, s9, 31
	s_add_u32 s0, s6, s12
	s_mov_b32 s13, s12
	s_addc_u32 s1, s9, s12
	s_xor_b64 s[14:15], s[0:1], s[12:13]
	v_cvt_f32_u32_e32 v3, s14
	v_cvt_f32_u32_e32 v6, s15
	s_sub_u32 s9, 0, s14
	s_subb_u32 s13, 0, s15
	v_madmk_f32 v3, v6, 0x4f800000, v3
	v_rcp_f32_e32 v3, v3
	v_mul_f32_e32 v3, 0x5f7ffffc, v3
	v_mul_f32_e32 v6, 0x2f800000, v3
	v_trunc_f32_e32 v6, v6
	v_madmk_f32 v3, v6, 0xcf800000, v3
	v_cvt_u32_f32_e32 v6, v6
	v_cvt_u32_f32_e32 v3, v3
	v_readfirstlane_b32 s16, v6
	v_readfirstlane_b32 s0, v3
	s_mul_i32 s1, s9, s16
	s_mul_hi_u32 s18, s9, s0
	s_mul_i32 s17, s13, s0
	s_add_i32 s1, s18, s1
	s_add_i32 s1, s1, s17
	s_mul_i32 s19, s9, s0
	s_mul_i32 s18, s0, s1
	s_mul_hi_u32 s20, s0, s19
	s_mul_hi_u32 s17, s0, s1
	s_add_u32 s18, s20, s18
	s_addc_u32 s17, 0, s17
	s_mul_hi_u32 s21, s16, s19
	s_mul_i32 s19, s16, s19
	s_add_u32 s18, s18, s19
	s_mul_hi_u32 s20, s16, s1
	s_addc_u32 s17, s17, s21
	s_addc_u32 s18, s20, 0
	s_mul_i32 s1, s16, s1
	s_add_u32 s1, s17, s1
	s_addc_u32 s17, 0, s18
	s_add_u32 s18, s0, s1
	s_cselect_b64 s[0:1], -1, 0
	s_cmp_lg_u64 s[0:1], 0
	s_addc_u32 s16, s16, s17
	s_mul_i32 s0, s9, s16
	s_mul_hi_u32 s1, s9, s18
	s_add_i32 s0, s1, s0
	s_mul_i32 s13, s13, s18
	s_add_i32 s0, s0, s13
	s_mul_i32 s9, s9, s18
	s_mul_hi_u32 s13, s16, s9
	s_mul_i32 s17, s16, s9
	s_mul_i32 s20, s18, s0
	s_mul_hi_u32 s9, s18, s9
	s_mul_hi_u32 s19, s18, s0
	s_add_u32 s9, s9, s20
	s_addc_u32 s19, 0, s19
	s_add_u32 s9, s9, s17
	s_mul_hi_u32 s1, s16, s0
	s_addc_u32 s9, s19, s13
	s_addc_u32 s1, s1, 0
	s_mul_i32 s0, s16, s0
	s_add_u32 s0, s9, s0
	s_addc_u32 s9, 0, s1
	s_add_u32 s13, s18, s0
	s_cselect_b64 s[0:1], -1, 0
	s_cmp_lg_u64 s[0:1], 0
	v_add_co_u32_e32 v3, vcc, v0, v8
	s_addc_u32 s9, s16, s9
	v_xor_b32_e32 v3, v3, v8
	v_mad_u64_u32 v[6:7], s[0:1], v3, s9, 0
	v_mul_hi_u32 v10, v3, s13
	v_addc_co_u32_e32 v9, vcc, v1, v8, vcc
	v_xor_b32_e32 v11, v9, v8
	v_add_co_u32_e32 v12, vcc, v10, v6
	v_addc_co_u32_e32 v13, vcc, 0, v7, vcc
	v_mad_u64_u32 v[6:7], s[0:1], v11, s13, 0
	v_mad_u64_u32 v[9:10], s[0:1], v11, s9, 0
	v_add_co_u32_e32 v6, vcc, v12, v6
	v_addc_co_u32_e32 v6, vcc, v13, v7, vcc
	v_addc_co_u32_e32 v7, vcc, 0, v10, vcc
	v_add_co_u32_e32 v9, vcc, v6, v9
	v_addc_co_u32_e32 v6, vcc, 0, v7, vcc
	v_mul_lo_u32 v10, s15, v9
	v_mul_lo_u32 v12, s14, v6
	v_mad_u64_u32 v[6:7], s[0:1], s14, v9, 0
	v_add3_u32 v7, v7, v12, v10
	v_sub_u32_e32 v10, v11, v7
	v_mov_b32_e32 v12, s15
	v_sub_co_u32_e32 v3, vcc, v3, v6
	v_subb_co_u32_e64 v6, s[0:1], v10, v12, vcc
	v_subrev_co_u32_e64 v10, s[0:1], s14, v3
	v_subbrev_co_u32_e64 v6, s[0:1], 0, v6, s[0:1]
	v_cmp_le_u32_e64 s[0:1], s15, v6
	v_subb_co_u32_e32 v7, vcc, v11, v7, vcc
	v_cndmask_b32_e64 v12, 0, -1, s[0:1]
	v_cmp_le_u32_e64 s[0:1], s14, v10
	v_cmp_le_u32_e32 vcc, s15, v7
	v_cndmask_b32_e64 v10, 0, -1, s[0:1]
	v_cmp_eq_u32_e64 s[0:1], s15, v6
	v_cndmask_b32_e64 v11, 0, -1, vcc
	v_cmp_le_u32_e32 vcc, s14, v3
	v_cndmask_b32_e64 v6, v12, v10, s[0:1]
	v_cndmask_b32_e64 v3, 0, -1, vcc
	v_cmp_eq_u32_e32 vcc, s15, v7
	v_add_co_u32_e64 v10, s[0:1], 2, v9
	v_add_co_u32_e64 v12, s[0:1], 1, v9
	v_cndmask_b32_e32 v3, v11, v3, vcc
	v_cmp_ne_u32_e32 vcc, 0, v6
	v_cndmask_b32_e32 v6, v12, v10, vcc
	v_cmp_ne_u32_e32 vcc, 0, v3
	v_cndmask_b32_e32 v3, v9, v6, vcc
	v_xor_b32_e32 v6, s12, v8
	v_xor_b32_e32 v3, v3, v6
	v_sub_co_u32_e32 v6, vcc, v3, v6
.LBB48_11:
	s_andn2_saveexec_b64 s[0:1], s[2:3]
	s_cbranch_execz .LBB48_13
; %bb.12:
	v_cvt_f32_u32_e32 v3, s6
	s_sub_i32 s2, 0, s6
	v_rcp_iflag_f32_e32 v3, v3
	v_mul_f32_e32 v3, 0x4f7ffffe, v3
	v_cvt_u32_f32_e32 v3, v3
	v_mul_lo_u32 v6, s2, v3
	v_mul_hi_u32 v6, v3, v6
	v_add_u32_e32 v3, v3, v6
	v_mul_hi_u32 v3, v0, v3
	v_mul_lo_u32 v6, v3, s6
	v_add_u32_e32 v7, 1, v3
	v_sub_u32_e32 v6, v0, v6
	v_subrev_u32_e32 v8, s6, v6
	v_cmp_le_u32_e32 vcc, s6, v6
	v_cndmask_b32_e32 v6, v6, v8, vcc
	v_cndmask_b32_e32 v3, v3, v7, vcc
	v_add_u32_e32 v7, 1, v3
	v_cmp_le_u32_e32 vcc, s6, v6
	v_cndmask_b32_e32 v6, v3, v7, vcc
.LBB48_13:
	s_or_b64 exec, exec, s[0:1]
	v_mul_lo_u32 v7, v4, s11
	v_mad_u64_u32 v[3:4], s[0:1], v4, s10, 0
	s_load_dwordx4 s[0:3], s[4:5], 0xb0
	s_load_dword s6, s[4:5], 0xc0
	v_mul_lo_u32 v5, v5, s10
	v_sub_co_u32_e32 v0, vcc, v0, v3
	s_waitcnt lgkmcnt(0)
	s_add_i32 s27, s3, s7
	s_add_i32 s26, s6, s8
	s_load_dwordx16 s[8:23], s[4:5], 0x18
	s_sub_i32 s3, 0, s2
	s_max_i32 s30, s2, 0
	v_max_i32_e32 v3, s2, v0
	s_max_i32 s3, s3, 0
	s_waitcnt lgkmcnt(0)
	s_add_i32 s2, s2, s12
	s_add_i32 s2, s2, -1
	v_min_i32_e32 v3, s2, v3
	s_sub_i32 s2, s3, s30
	v_add3_u32 v4, v4, v7, v5
	s_sub_i32 s6, 0, s1
	s_max_i32 s9, s1, 0
	v_add_u32_e32 v5, s2, v3
	v_max_i32_e32 v3, s1, v2
	s_add_i32 s1, s1, s10
	s_max_i32 s28, s6, 0
	s_add_i32 s1, s1, -1
	v_min_i32_e32 v3, s1, v3
	s_sub_i32 s1, s28, s9
	s_sub_i32 s6, 0, s0
	s_max_i32 s11, s0, 0
	v_add_u32_e32 v7, s1, v3
	v_max_i32_e32 v3, s0, v6
	s_add_i32 s0, s0, s8
	s_max_i32 s29, s6, 0
	s_add_i32 s0, s0, -1
	s_load_dwordx2 s[6:7], s[4:5], 0x0
	v_min_i32_e32 v3, s0, v3
	s_sub_i32 s0, s29, s11
	s_ashr_i32 s28, s26, 31
	v_add_u32_e32 v3, s0, v3
	s_mul_i32 s0, s14, s28
	s_mul_hi_u32 s1, s14, s26
	s_add_i32 s0, s1, s0
	s_mul_i32 s1, s15, s26
	s_add_i32 s1, s0, s1
	s_mul_i32 s0, s14, s26
	s_lshl_b64 s[0:1], s[0:1], 3
	s_waitcnt lgkmcnt(0)
	s_add_u32 s6, s6, s0
	s_addc_u32 s7, s7, s1
	s_ashr_i32 s29, s27, 31
	v_subb_co_u32_e32 v1, vcc, v1, v4, vcc
	s_mul_i32 s0, s16, s29
	s_mul_hi_u32 s1, s16, s27
	v_ashrrev_i32_e32 v4, 31, v3
	s_add_i32 s0, s1, s0
	s_mul_i32 s1, s17, s27
	v_mul_lo_u32 v8, s18, v4
	v_mul_lo_u32 v9, s19, v3
	v_mad_u64_u32 v[3:4], s[2:3], s18, v3, 0
	s_add_i32 s1, s0, s1
	s_mul_i32 s0, s16, s27
	s_lshl_b64 s[0:1], s[0:1], 3
	s_add_u32 s2, s6, s0
	s_addc_u32 s0, s7, s1
	v_add3_u32 v4, v4, v8, v9
	v_ashrrev_i32_e32 v8, 31, v7
	v_mov_b32_e32 v9, s0
	v_mul_lo_u32 v10, s20, v8
	v_mul_lo_u32 v11, s21, v7
	v_mad_u64_u32 v[7:8], s[0:1], s20, v7, 0
	v_lshlrev_b64 v[3:4], 3, v[3:4]
	s_load_dwordx2 s[24:25], s[4:5], 0xa8
	v_add_co_u32_e32 v12, vcc, s2, v3
	v_add3_u32 v8, v8, v10, v11
	v_addc_co_u32_e32 v9, vcc, v9, v4, vcc
	v_lshlrev_b64 v[3:4], 3, v[7:8]
	v_ashrrev_i32_e32 v7, 31, v5
	v_mul_lo_u32 v10, s22, v7
	v_mul_lo_u32 v11, s23, v5
	v_mad_u64_u32 v[7:8], s[0:1], s22, v5, 0
	v_add_co_u32_e32 v5, vcc, v12, v3
	v_add3_u32 v8, v8, v10, v11
	v_addc_co_u32_e32 v9, vcc, v9, v4, vcc
	v_lshlrev_b64 v[3:4], 3, v[7:8]
	v_add_co_u32_e32 v3, vcc, v5, v3
	v_addc_co_u32_e32 v4, vcc, v9, v4, vcc
	global_load_dwordx2 v[3:4], v[3:4], off
	s_load_dwordx8 s[8:15], s[4:5], 0x88
	s_load_dwordx2 s[0:1], s[4:5], 0x58
	v_ashrrev_i32_e32 v5, 31, v6
	s_waitcnt lgkmcnt(0)
	s_mul_i32 s2, s8, s28
	s_mul_hi_u32 s3, s8, s26
	s_add_i32 s2, s3, s2
	s_mul_i32 s3, s9, s26
	s_add_i32 s3, s2, s3
	s_mul_i32 s2, s8, s26
	s_lshl_b64 s[2:3], s[2:3], 3
	s_add_u32 s4, s0, s2
	s_addc_u32 s5, s1, s3
	s_mul_i32 s0, s10, s29
	s_mul_hi_u32 s1, s10, s27
	s_add_i32 s0, s1, s0
	s_mul_i32 s1, s11, s27
	v_mul_lo_u32 v7, s13, v6
	v_mul_lo_u32 v8, s12, v5
	v_mad_u64_u32 v[5:6], s[2:3], s12, v6, 0
	s_add_i32 s1, s0, s1
	s_mul_i32 s0, s10, s27
	s_lshl_b64 s[0:1], s[0:1], 3
	s_add_u32 s2, s4, s0
	s_addc_u32 s0, s5, s1
	v_add3_u32 v6, v6, v8, v7
	v_ashrrev_i32_e32 v7, 31, v2
	v_mov_b32_e32 v9, s0
	v_mul_lo_u32 v10, s15, v2
	v_mul_lo_u32 v11, s14, v7
	v_mad_u64_u32 v[7:8], s[0:1], s14, v2, 0
	v_lshlrev_b64 v[5:6], 3, v[5:6]
	v_add_co_u32_e32 v2, vcc, s2, v5
	v_add3_u32 v8, v8, v11, v10
	v_addc_co_u32_e32 v9, vcc, v9, v6, vcc
	v_lshlrev_b64 v[5:6], 3, v[7:8]
	v_mul_lo_u32 v7, s25, v0
	v_mul_lo_u32 v8, s24, v1
	v_mad_u64_u32 v[0:1], s[0:1], s24, v0, 0
	v_add_co_u32_e32 v2, vcc, v2, v5
	v_add3_u32 v1, v1, v8, v7
	v_lshlrev_b64 v[0:1], 3, v[0:1]
	v_addc_co_u32_e32 v5, vcc, v9, v6, vcc
	v_add_co_u32_e32 v0, vcc, v2, v0
	v_addc_co_u32_e32 v1, vcc, v5, v1, vcc
	s_waitcnt vmcnt(0)
	global_store_dwordx2 v[0:1], v[3:4], off
.LBB48_14:
	s_endpgm
	.section	.rodata,"a",@progbits
	.p2align	6, 0x0
	.amdhsa_kernel _ZN2at6native12_GLOBAL__N_132replication_pad_forward_kernel3dIN3c107complexIfEEEEvN5torch10headeronly6detail27GenericPackedTensorAccessorINS8_14TensorAccessorINS3_8ArrayRefIlEEKT_Lm4ENS7_16DefaultPtrTraitsElEENS_6detail16IndexBoundsCheckILm5ElEESE_Lm5ESF_lEENS9_INSA_ISC_SD_Lm4ESF_lEESJ_SD_Lm5ESF_lEEiiiii
		.amdhsa_group_segment_fixed_size 0
		.amdhsa_private_segment_fixed_size 0
		.amdhsa_kernarg_size 456
		.amdhsa_user_sgpr_count 6
		.amdhsa_user_sgpr_private_segment_buffer 1
		.amdhsa_user_sgpr_dispatch_ptr 0
		.amdhsa_user_sgpr_queue_ptr 0
		.amdhsa_user_sgpr_kernarg_segment_ptr 1
		.amdhsa_user_sgpr_dispatch_id 0
		.amdhsa_user_sgpr_flat_scratch_init 0
		.amdhsa_user_sgpr_private_segment_size 0
		.amdhsa_uses_dynamic_stack 0
		.amdhsa_system_sgpr_private_segment_wavefront_offset 0
		.amdhsa_system_sgpr_workgroup_id_x 1
		.amdhsa_system_sgpr_workgroup_id_y 1
		.amdhsa_system_sgpr_workgroup_id_z 1
		.amdhsa_system_sgpr_workgroup_info 0
		.amdhsa_system_vgpr_workitem_id 0
		.amdhsa_next_free_vgpr 14
		.amdhsa_next_free_sgpr 31
		.amdhsa_reserve_vcc 1
		.amdhsa_reserve_flat_scratch 0
		.amdhsa_float_round_mode_32 0
		.amdhsa_float_round_mode_16_64 0
		.amdhsa_float_denorm_mode_32 3
		.amdhsa_float_denorm_mode_16_64 3
		.amdhsa_dx10_clamp 1
		.amdhsa_ieee_mode 1
		.amdhsa_fp16_overflow 0
		.amdhsa_exception_fp_ieee_invalid_op 0
		.amdhsa_exception_fp_denorm_src 0
		.amdhsa_exception_fp_ieee_div_zero 0
		.amdhsa_exception_fp_ieee_overflow 0
		.amdhsa_exception_fp_ieee_underflow 0
		.amdhsa_exception_fp_ieee_inexact 0
		.amdhsa_exception_int_div_zero 0
	.end_amdhsa_kernel
	.section	.text._ZN2at6native12_GLOBAL__N_132replication_pad_forward_kernel3dIN3c107complexIfEEEEvN5torch10headeronly6detail27GenericPackedTensorAccessorINS8_14TensorAccessorINS3_8ArrayRefIlEEKT_Lm4ENS7_16DefaultPtrTraitsElEENS_6detail16IndexBoundsCheckILm5ElEESE_Lm5ESF_lEENS9_INSA_ISC_SD_Lm4ESF_lEESJ_SD_Lm5ESF_lEEiiiii,"axG",@progbits,_ZN2at6native12_GLOBAL__N_132replication_pad_forward_kernel3dIN3c107complexIfEEEEvN5torch10headeronly6detail27GenericPackedTensorAccessorINS8_14TensorAccessorINS3_8ArrayRefIlEEKT_Lm4ENS7_16DefaultPtrTraitsElEENS_6detail16IndexBoundsCheckILm5ElEESE_Lm5ESF_lEENS9_INSA_ISC_SD_Lm4ESF_lEESJ_SD_Lm5ESF_lEEiiiii,comdat
.Lfunc_end48:
	.size	_ZN2at6native12_GLOBAL__N_132replication_pad_forward_kernel3dIN3c107complexIfEEEEvN5torch10headeronly6detail27GenericPackedTensorAccessorINS8_14TensorAccessorINS3_8ArrayRefIlEEKT_Lm4ENS7_16DefaultPtrTraitsElEENS_6detail16IndexBoundsCheckILm5ElEESE_Lm5ESF_lEENS9_INSA_ISC_SD_Lm4ESF_lEESJ_SD_Lm5ESF_lEEiiiii, .Lfunc_end48-_ZN2at6native12_GLOBAL__N_132replication_pad_forward_kernel3dIN3c107complexIfEEEEvN5torch10headeronly6detail27GenericPackedTensorAccessorINS8_14TensorAccessorINS3_8ArrayRefIlEEKT_Lm4ENS7_16DefaultPtrTraitsElEENS_6detail16IndexBoundsCheckILm5ElEESE_Lm5ESF_lEENS9_INSA_ISC_SD_Lm4ESF_lEESJ_SD_Lm5ESF_lEEiiiii
                                        ; -- End function
	.set _ZN2at6native12_GLOBAL__N_132replication_pad_forward_kernel3dIN3c107complexIfEEEEvN5torch10headeronly6detail27GenericPackedTensorAccessorINS8_14TensorAccessorINS3_8ArrayRefIlEEKT_Lm4ENS7_16DefaultPtrTraitsElEENS_6detail16IndexBoundsCheckILm5ElEESE_Lm5ESF_lEENS9_INSA_ISC_SD_Lm4ESF_lEESJ_SD_Lm5ESF_lEEiiiii.num_vgpr, 14
	.set _ZN2at6native12_GLOBAL__N_132replication_pad_forward_kernel3dIN3c107complexIfEEEEvN5torch10headeronly6detail27GenericPackedTensorAccessorINS8_14TensorAccessorINS3_8ArrayRefIlEEKT_Lm4ENS7_16DefaultPtrTraitsElEENS_6detail16IndexBoundsCheckILm5ElEESE_Lm5ESF_lEENS9_INSA_ISC_SD_Lm4ESF_lEESJ_SD_Lm5ESF_lEEiiiii.num_agpr, 0
	.set _ZN2at6native12_GLOBAL__N_132replication_pad_forward_kernel3dIN3c107complexIfEEEEvN5torch10headeronly6detail27GenericPackedTensorAccessorINS8_14TensorAccessorINS3_8ArrayRefIlEEKT_Lm4ENS7_16DefaultPtrTraitsElEENS_6detail16IndexBoundsCheckILm5ElEESE_Lm5ESF_lEENS9_INSA_ISC_SD_Lm4ESF_lEESJ_SD_Lm5ESF_lEEiiiii.numbered_sgpr, 31
	.set _ZN2at6native12_GLOBAL__N_132replication_pad_forward_kernel3dIN3c107complexIfEEEEvN5torch10headeronly6detail27GenericPackedTensorAccessorINS8_14TensorAccessorINS3_8ArrayRefIlEEKT_Lm4ENS7_16DefaultPtrTraitsElEENS_6detail16IndexBoundsCheckILm5ElEESE_Lm5ESF_lEENS9_INSA_ISC_SD_Lm4ESF_lEESJ_SD_Lm5ESF_lEEiiiii.num_named_barrier, 0
	.set _ZN2at6native12_GLOBAL__N_132replication_pad_forward_kernel3dIN3c107complexIfEEEEvN5torch10headeronly6detail27GenericPackedTensorAccessorINS8_14TensorAccessorINS3_8ArrayRefIlEEKT_Lm4ENS7_16DefaultPtrTraitsElEENS_6detail16IndexBoundsCheckILm5ElEESE_Lm5ESF_lEENS9_INSA_ISC_SD_Lm4ESF_lEESJ_SD_Lm5ESF_lEEiiiii.private_seg_size, 0
	.set _ZN2at6native12_GLOBAL__N_132replication_pad_forward_kernel3dIN3c107complexIfEEEEvN5torch10headeronly6detail27GenericPackedTensorAccessorINS8_14TensorAccessorINS3_8ArrayRefIlEEKT_Lm4ENS7_16DefaultPtrTraitsElEENS_6detail16IndexBoundsCheckILm5ElEESE_Lm5ESF_lEENS9_INSA_ISC_SD_Lm4ESF_lEESJ_SD_Lm5ESF_lEEiiiii.uses_vcc, 1
	.set _ZN2at6native12_GLOBAL__N_132replication_pad_forward_kernel3dIN3c107complexIfEEEEvN5torch10headeronly6detail27GenericPackedTensorAccessorINS8_14TensorAccessorINS3_8ArrayRefIlEEKT_Lm4ENS7_16DefaultPtrTraitsElEENS_6detail16IndexBoundsCheckILm5ElEESE_Lm5ESF_lEENS9_INSA_ISC_SD_Lm4ESF_lEESJ_SD_Lm5ESF_lEEiiiii.uses_flat_scratch, 0
	.set _ZN2at6native12_GLOBAL__N_132replication_pad_forward_kernel3dIN3c107complexIfEEEEvN5torch10headeronly6detail27GenericPackedTensorAccessorINS8_14TensorAccessorINS3_8ArrayRefIlEEKT_Lm4ENS7_16DefaultPtrTraitsElEENS_6detail16IndexBoundsCheckILm5ElEESE_Lm5ESF_lEENS9_INSA_ISC_SD_Lm4ESF_lEESJ_SD_Lm5ESF_lEEiiiii.has_dyn_sized_stack, 0
	.set _ZN2at6native12_GLOBAL__N_132replication_pad_forward_kernel3dIN3c107complexIfEEEEvN5torch10headeronly6detail27GenericPackedTensorAccessorINS8_14TensorAccessorINS3_8ArrayRefIlEEKT_Lm4ENS7_16DefaultPtrTraitsElEENS_6detail16IndexBoundsCheckILm5ElEESE_Lm5ESF_lEENS9_INSA_ISC_SD_Lm4ESF_lEESJ_SD_Lm5ESF_lEEiiiii.has_recursion, 0
	.set _ZN2at6native12_GLOBAL__N_132replication_pad_forward_kernel3dIN3c107complexIfEEEEvN5torch10headeronly6detail27GenericPackedTensorAccessorINS8_14TensorAccessorINS3_8ArrayRefIlEEKT_Lm4ENS7_16DefaultPtrTraitsElEENS_6detail16IndexBoundsCheckILm5ElEESE_Lm5ESF_lEENS9_INSA_ISC_SD_Lm4ESF_lEESJ_SD_Lm5ESF_lEEiiiii.has_indirect_call, 0
	.section	.AMDGPU.csdata,"",@progbits
; Kernel info:
; codeLenInByte = 2952
; TotalNumSgprs: 35
; NumVgprs: 14
; ScratchSize: 0
; MemoryBound: 0
; FloatMode: 240
; IeeeMode: 1
; LDSByteSize: 0 bytes/workgroup (compile time only)
; SGPRBlocks: 4
; VGPRBlocks: 3
; NumSGPRsForWavesPerEU: 35
; NumVGPRsForWavesPerEU: 14
; Occupancy: 10
; WaveLimiterHint : 1
; COMPUTE_PGM_RSRC2:SCRATCH_EN: 0
; COMPUTE_PGM_RSRC2:USER_SGPR: 6
; COMPUTE_PGM_RSRC2:TRAP_HANDLER: 0
; COMPUTE_PGM_RSRC2:TGID_X_EN: 1
; COMPUTE_PGM_RSRC2:TGID_Y_EN: 1
; COMPUTE_PGM_RSRC2:TGID_Z_EN: 1
; COMPUTE_PGM_RSRC2:TIDIG_COMP_CNT: 0
	.section	.text._ZN2at6native12_GLOBAL__N_132replication_pad_forward_kernel3dIN3c104HalfEEEvN5torch10headeronly6detail27GenericPackedTensorAccessorINS7_14TensorAccessorINS3_8ArrayRefIlEEKT_Lm4ENS6_16DefaultPtrTraitsElEENS_6detail16IndexBoundsCheckILm5ElEESD_Lm5ESE_lEENS8_INS9_ISB_SC_Lm4ESE_lEESI_SC_Lm5ESE_lEEiiiii,"axG",@progbits,_ZN2at6native12_GLOBAL__N_132replication_pad_forward_kernel3dIN3c104HalfEEEvN5torch10headeronly6detail27GenericPackedTensorAccessorINS7_14TensorAccessorINS3_8ArrayRefIlEEKT_Lm4ENS6_16DefaultPtrTraitsElEENS_6detail16IndexBoundsCheckILm5ElEESD_Lm5ESE_lEENS8_INS9_ISB_SC_Lm4ESE_lEESI_SC_Lm5ESE_lEEiiiii,comdat
	.globl	_ZN2at6native12_GLOBAL__N_132replication_pad_forward_kernel3dIN3c104HalfEEEvN5torch10headeronly6detail27GenericPackedTensorAccessorINS7_14TensorAccessorINS3_8ArrayRefIlEEKT_Lm4ENS6_16DefaultPtrTraitsElEENS_6detail16IndexBoundsCheckILm5ElEESD_Lm5ESE_lEENS8_INS9_ISB_SC_Lm4ESE_lEESI_SC_Lm5ESE_lEEiiiii ; -- Begin function _ZN2at6native12_GLOBAL__N_132replication_pad_forward_kernel3dIN3c104HalfEEEvN5torch10headeronly6detail27GenericPackedTensorAccessorINS7_14TensorAccessorINS3_8ArrayRefIlEEKT_Lm4ENS6_16DefaultPtrTraitsElEENS_6detail16IndexBoundsCheckILm5ElEESD_Lm5ESE_lEENS8_INS9_ISB_SC_Lm4ESE_lEESI_SC_Lm5ESE_lEEiiiii
	.p2align	8
	.type	_ZN2at6native12_GLOBAL__N_132replication_pad_forward_kernel3dIN3c104HalfEEEvN5torch10headeronly6detail27GenericPackedTensorAccessorINS7_14TensorAccessorINS3_8ArrayRefIlEEKT_Lm4ENS6_16DefaultPtrTraitsElEENS_6detail16IndexBoundsCheckILm5ElEESD_Lm5ESE_lEENS8_INS9_ISB_SC_Lm4ESE_lEESI_SC_Lm5ESE_lEEiiiii,@function
_ZN2at6native12_GLOBAL__N_132replication_pad_forward_kernel3dIN3c104HalfEEEvN5torch10headeronly6detail27GenericPackedTensorAccessorINS7_14TensorAccessorINS3_8ArrayRefIlEEKT_Lm4ENS6_16DefaultPtrTraitsElEENS_6detail16IndexBoundsCheckILm5ElEESD_Lm5ESE_lEENS8_INS9_ISB_SC_Lm4ESE_lEESI_SC_Lm5ESE_lEEiiiii: ; @_ZN2at6native12_GLOBAL__N_132replication_pad_forward_kernel3dIN3c104HalfEEEvN5torch10headeronly6detail27GenericPackedTensorAccessorINS7_14TensorAccessorINS3_8ArrayRefIlEEKT_Lm4ENS6_16DefaultPtrTraitsElEENS_6detail16IndexBoundsCheckILm5ElEESD_Lm5ESE_lEENS8_INS9_ISB_SC_Lm4ESE_lEESI_SC_Lm5ESE_lEEiiiii
; %bb.0:
	s_load_dword s9, s[4:5], 0xd4
	s_load_dwordx4 s[0:3], s[4:5], 0x70
	s_load_dwordx2 s[10:11], s[4:5], 0x80
	s_waitcnt lgkmcnt(0)
	s_and_b32 s9, s9, 0xffff
	s_mul_i32 s6, s6, s9
	v_add_u32_e32 v0, s6, v0
	s_mul_i32 s6, s10, s3
	s_mul_hi_u32 s9, s10, s2
	s_add_i32 s9, s9, s6
	s_mul_i32 s6, s11, s2
	s_add_i32 s9, s9, s6
	s_mul_i32 s6, s10, s2
	s_mul_i32 s1, s6, s1
	s_mul_hi_u32 s12, s6, s0
	s_add_i32 s1, s12, s1
	s_mul_i32 s12, s9, s0
	v_ashrrev_i32_e32 v1, 31, v0
	s_add_i32 s1, s1, s12
	s_mul_i32 s0, s6, s0
	v_cmp_gt_i64_e32 vcc, s[0:1], v[0:1]
	s_and_saveexec_b64 s[0:1], vcc
	s_cbranch_execz .LBB49_14
; %bb.1:
	v_or_b32_e32 v3, s11, v1
	v_mov_b32_e32 v2, 0
	v_cmp_ne_u64_e32 vcc, 0, v[2:3]
	v_ashrrev_i32_e32 v8, 31, v1
                                        ; implicit-def: $vgpr4_vgpr5
	s_and_saveexec_b64 s[0:1], vcc
	s_xor_b64 s[12:13], exec, s[0:1]
	s_cbranch_execz .LBB49_3
; %bb.2:
	s_ashr_i32 s14, s11, 31
	s_add_u32 s0, s10, s14
	s_mov_b32 s15, s14
	s_addc_u32 s1, s11, s14
	s_xor_b64 s[16:17], s[0:1], s[14:15]
	v_cvt_f32_u32_e32 v2, s16
	v_cvt_f32_u32_e32 v3, s17
	s_sub_u32 s15, 0, s16
	s_subb_u32 s18, 0, s17
	v_madmk_f32 v2, v3, 0x4f800000, v2
	v_rcp_f32_e32 v2, v2
	v_mul_f32_e32 v2, 0x5f7ffffc, v2
	v_mul_f32_e32 v3, 0x2f800000, v2
	v_trunc_f32_e32 v3, v3
	v_madmk_f32 v2, v3, 0xcf800000, v2
	v_cvt_u32_f32_e32 v3, v3
	v_cvt_u32_f32_e32 v2, v2
	v_readfirstlane_b32 s19, v3
	v_readfirstlane_b32 s0, v2
	s_mul_i32 s1, s15, s19
	s_mul_hi_u32 s21, s15, s0
	s_mul_i32 s20, s18, s0
	s_add_i32 s1, s21, s1
	s_add_i32 s1, s1, s20
	s_mul_i32 s22, s15, s0
	s_mul_i32 s21, s0, s1
	s_mul_hi_u32 s23, s0, s22
	s_mul_hi_u32 s20, s0, s1
	s_add_u32 s21, s23, s21
	s_addc_u32 s20, 0, s20
	s_mul_hi_u32 s24, s19, s22
	s_mul_i32 s22, s19, s22
	s_add_u32 s21, s21, s22
	s_mul_hi_u32 s23, s19, s1
	s_addc_u32 s20, s20, s24
	s_addc_u32 s21, s23, 0
	s_mul_i32 s1, s19, s1
	s_add_u32 s1, s20, s1
	s_addc_u32 s20, 0, s21
	s_add_u32 s21, s0, s1
	s_cselect_b64 s[0:1], -1, 0
	s_cmp_lg_u64 s[0:1], 0
	s_addc_u32 s19, s19, s20
	s_mul_i32 s0, s15, s19
	s_mul_hi_u32 s1, s15, s21
	s_add_i32 s0, s1, s0
	s_mul_i32 s18, s18, s21
	s_add_i32 s0, s0, s18
	s_mul_i32 s15, s15, s21
	s_mul_hi_u32 s18, s19, s15
	s_mul_i32 s20, s19, s15
	s_mul_i32 s23, s21, s0
	s_mul_hi_u32 s15, s21, s15
	s_mul_hi_u32 s22, s21, s0
	s_add_u32 s15, s15, s23
	s_addc_u32 s22, 0, s22
	s_add_u32 s15, s15, s20
	s_mul_hi_u32 s1, s19, s0
	s_addc_u32 s15, s22, s18
	s_addc_u32 s1, s1, 0
	s_mul_i32 s0, s19, s0
	s_add_u32 s0, s15, s0
	s_addc_u32 s15, 0, s1
	s_add_u32 s18, s21, s0
	s_cselect_b64 s[0:1], -1, 0
	s_cmp_lg_u64 s[0:1], 0
	v_add_co_u32_e32 v2, vcc, v0, v8
	s_addc_u32 s15, s19, s15
	v_xor_b32_e32 v6, v2, v8
	v_mad_u64_u32 v[2:3], s[0:1], v6, s15, 0
	v_mul_hi_u32 v5, v6, s18
	v_addc_co_u32_e32 v4, vcc, v1, v8, vcc
	v_xor_b32_e32 v7, v4, v8
	v_add_co_u32_e32 v9, vcc, v5, v2
	v_addc_co_u32_e32 v10, vcc, 0, v3, vcc
	v_mad_u64_u32 v[2:3], s[0:1], v7, s18, 0
	v_mad_u64_u32 v[4:5], s[0:1], v7, s15, 0
	v_add_co_u32_e32 v2, vcc, v9, v2
	v_addc_co_u32_e32 v2, vcc, v10, v3, vcc
	v_addc_co_u32_e32 v3, vcc, 0, v5, vcc
	v_add_co_u32_e32 v4, vcc, v2, v4
	v_addc_co_u32_e32 v5, vcc, 0, v3, vcc
	v_mul_lo_u32 v9, s17, v4
	v_mul_lo_u32 v10, s16, v5
	v_mad_u64_u32 v[2:3], s[0:1], s16, v4, 0
	v_add3_u32 v3, v3, v10, v9
	v_sub_u32_e32 v9, v7, v3
	v_mov_b32_e32 v10, s17
	v_sub_co_u32_e32 v2, vcc, v6, v2
	v_subb_co_u32_e64 v6, s[0:1], v9, v10, vcc
	v_subrev_co_u32_e64 v9, s[0:1], s16, v2
	v_subbrev_co_u32_e64 v6, s[0:1], 0, v6, s[0:1]
	v_cmp_le_u32_e64 s[0:1], s17, v6
	v_cndmask_b32_e64 v10, 0, -1, s[0:1]
	v_cmp_le_u32_e64 s[0:1], s16, v9
	v_cndmask_b32_e64 v9, 0, -1, s[0:1]
	v_cmp_eq_u32_e64 s[0:1], s17, v6
	v_cndmask_b32_e64 v6, v10, v9, s[0:1]
	v_add_co_u32_e64 v9, s[0:1], 2, v4
	v_subb_co_u32_e32 v3, vcc, v7, v3, vcc
	v_addc_co_u32_e64 v10, s[0:1], 0, v5, s[0:1]
	v_cmp_le_u32_e32 vcc, s17, v3
	v_add_co_u32_e64 v11, s[0:1], 1, v4
	v_cndmask_b32_e64 v7, 0, -1, vcc
	v_cmp_le_u32_e32 vcc, s16, v2
	v_addc_co_u32_e64 v12, s[0:1], 0, v5, s[0:1]
	v_cndmask_b32_e64 v2, 0, -1, vcc
	v_cmp_eq_u32_e32 vcc, s17, v3
	v_cmp_ne_u32_e64 s[0:1], 0, v6
	v_cndmask_b32_e32 v2, v7, v2, vcc
	v_cndmask_b32_e64 v6, v12, v10, s[0:1]
	v_cmp_ne_u32_e32 vcc, 0, v2
	v_cndmask_b32_e64 v3, v11, v9, s[0:1]
	v_cndmask_b32_e32 v2, v5, v6, vcc
	v_cndmask_b32_e32 v3, v4, v3, vcc
	v_xor_b32_e32 v5, s14, v8
	v_xor_b32_e32 v3, v3, v5
	v_xor_b32_e32 v2, v2, v5
	v_sub_co_u32_e32 v4, vcc, v3, v5
	v_subb_co_u32_e32 v5, vcc, v2, v5, vcc
.LBB49_3:
	s_andn2_saveexec_b64 s[0:1], s[12:13]
	s_cbranch_execz .LBB49_5
; %bb.4:
	v_cvt_f32_u32_e32 v2, s10
	s_sub_i32 s12, 0, s10
	v_rcp_iflag_f32_e32 v2, v2
	v_mul_f32_e32 v2, 0x4f7ffffe, v2
	v_cvt_u32_f32_e32 v2, v2
	v_mul_lo_u32 v3, s12, v2
	v_mul_hi_u32 v3, v2, v3
	v_add_u32_e32 v2, v2, v3
	v_mul_hi_u32 v2, v0, v2
	v_mul_lo_u32 v3, v2, s10
	v_add_u32_e32 v4, 1, v2
	v_sub_u32_e32 v3, v0, v3
	v_subrev_u32_e32 v5, s10, v3
	v_cmp_le_u32_e32 vcc, s10, v3
	v_cndmask_b32_e32 v3, v3, v5, vcc
	v_cndmask_b32_e32 v2, v2, v4, vcc
	v_add_u32_e32 v4, 1, v2
	v_cmp_le_u32_e32 vcc, s10, v3
	v_cndmask_b32_e32 v4, v2, v4, vcc
	v_mov_b32_e32 v5, 0
.LBB49_5:
	s_or_b64 exec, exec, s[0:1]
	v_or_b32_e32 v3, s3, v5
	v_mov_b32_e32 v2, 0
	v_cmp_ne_u64_e32 vcc, 0, v[2:3]
                                        ; implicit-def: $vgpr2_vgpr3
	s_and_saveexec_b64 s[0:1], vcc
	s_xor_b64 s[12:13], exec, s[0:1]
	s_cbranch_execz .LBB49_7
; %bb.6:
	s_ashr_i32 s0, s3, 31
	s_add_u32 s14, s2, s0
	s_mov_b32 s1, s0
	s_addc_u32 s15, s3, s0
	s_xor_b64 s[14:15], s[14:15], s[0:1]
	v_cvt_f32_u32_e32 v2, s14
	v_cvt_f32_u32_e32 v3, s15
	s_sub_u32 s3, 0, s14
	s_subb_u32 s16, 0, s15
	v_ashrrev_i32_e32 v9, 31, v5
	v_madmk_f32 v2, v3, 0x4f800000, v2
	v_rcp_f32_e32 v2, v2
	v_mul_f32_e32 v2, 0x5f7ffffc, v2
	v_mul_f32_e32 v3, 0x2f800000, v2
	v_trunc_f32_e32 v3, v3
	v_madmk_f32 v2, v3, 0xcf800000, v2
	v_cvt_u32_f32_e32 v3, v3
	v_cvt_u32_f32_e32 v2, v2
	v_readfirstlane_b32 s17, v3
	v_readfirstlane_b32 s0, v2
	s_mul_i32 s1, s3, s17
	s_mul_hi_u32 s19, s3, s0
	s_mul_i32 s18, s16, s0
	s_add_i32 s1, s19, s1
	s_add_i32 s1, s1, s18
	s_mul_i32 s20, s3, s0
	s_mul_i32 s19, s0, s1
	s_mul_hi_u32 s21, s0, s20
	s_mul_hi_u32 s18, s0, s1
	s_add_u32 s19, s21, s19
	s_addc_u32 s18, 0, s18
	s_mul_hi_u32 s22, s17, s20
	s_mul_i32 s20, s17, s20
	s_add_u32 s19, s19, s20
	s_mul_hi_u32 s21, s17, s1
	s_addc_u32 s18, s18, s22
	s_addc_u32 s19, s21, 0
	s_mul_i32 s1, s17, s1
	s_add_u32 s1, s18, s1
	s_addc_u32 s18, 0, s19
	s_add_u32 s19, s0, s1
	s_cselect_b64 s[0:1], -1, 0
	s_cmp_lg_u64 s[0:1], 0
	s_addc_u32 s17, s17, s18
	s_mul_i32 s0, s3, s17
	s_mul_hi_u32 s1, s3, s19
	s_add_i32 s0, s1, s0
	s_mul_i32 s16, s16, s19
	s_add_i32 s0, s0, s16
	s_mul_i32 s3, s3, s19
	s_mul_hi_u32 s16, s17, s3
	s_mul_i32 s18, s17, s3
	s_mul_i32 s21, s19, s0
	s_mul_hi_u32 s3, s19, s3
	s_mul_hi_u32 s20, s19, s0
	s_add_u32 s3, s3, s21
	s_addc_u32 s20, 0, s20
	s_add_u32 s3, s3, s18
	s_mul_hi_u32 s1, s17, s0
	s_addc_u32 s3, s20, s16
	s_addc_u32 s1, s1, 0
	s_mul_i32 s0, s17, s0
	s_add_u32 s0, s3, s0
	s_addc_u32 s3, 0, s1
	s_add_u32 s16, s19, s0
	s_cselect_b64 s[0:1], -1, 0
	s_cmp_lg_u64 s[0:1], 0
	v_add_co_u32_e32 v2, vcc, v4, v9
	s_addc_u32 s3, s17, s3
	v_xor_b32_e32 v10, v2, v9
	v_mad_u64_u32 v[2:3], s[0:1], v10, s3, 0
	v_mul_hi_u32 v7, v10, s16
	v_addc_co_u32_e32 v6, vcc, v5, v9, vcc
	v_xor_b32_e32 v11, v6, v9
	v_add_co_u32_e32 v12, vcc, v7, v2
	v_addc_co_u32_e32 v13, vcc, 0, v3, vcc
	v_mad_u64_u32 v[2:3], s[0:1], v11, s16, 0
	v_mad_u64_u32 v[6:7], s[0:1], v11, s3, 0
	v_add_co_u32_e32 v2, vcc, v12, v2
	v_addc_co_u32_e32 v2, vcc, v13, v3, vcc
	v_addc_co_u32_e32 v3, vcc, 0, v7, vcc
	v_add_co_u32_e32 v2, vcc, v2, v6
	v_addc_co_u32_e32 v3, vcc, 0, v3, vcc
	v_mul_lo_u32 v6, s15, v2
	v_mul_lo_u32 v7, s14, v3
	v_mad_u64_u32 v[2:3], s[0:1], s14, v2, 0
	v_add3_u32 v3, v3, v7, v6
	v_sub_u32_e32 v6, v11, v3
	v_mov_b32_e32 v7, s15
	v_sub_co_u32_e32 v2, vcc, v10, v2
	v_subb_co_u32_e64 v6, s[0:1], v6, v7, vcc
	v_subrev_co_u32_e64 v7, s[0:1], s14, v2
	v_subbrev_co_u32_e64 v6, s[0:1], 0, v6, s[0:1]
	v_cmp_le_u32_e64 s[0:1], s15, v6
	v_subb_co_u32_e32 v3, vcc, v11, v3, vcc
	v_cndmask_b32_e64 v10, 0, -1, s[0:1]
	v_cmp_le_u32_e64 s[0:1], s14, v7
	v_cmp_le_u32_e32 vcc, s15, v3
	v_cndmask_b32_e64 v12, 0, -1, s[0:1]
	v_cmp_eq_u32_e64 s[0:1], s15, v6
	v_cndmask_b32_e64 v11, 0, -1, vcc
	v_cmp_le_u32_e32 vcc, s14, v2
	v_cndmask_b32_e64 v6, v10, v12, s[0:1]
	v_cndmask_b32_e64 v12, 0, -1, vcc
	v_cmp_eq_u32_e32 vcc, s15, v3
	v_subrev_co_u32_e64 v10, s[0:1], s14, v7
	v_cndmask_b32_e32 v3, v11, v12, vcc
	v_cmp_ne_u32_e32 vcc, 0, v6
	v_cndmask_b32_e32 v6, v7, v10, vcc
	v_cmp_ne_u32_e32 vcc, 0, v3
	v_cndmask_b32_e32 v2, v2, v6, vcc
	v_xor_b32_e32 v2, v2, v9
	v_sub_co_u32_e32 v2, vcc, v2, v9
.LBB49_7:
	s_andn2_saveexec_b64 s[0:1], s[12:13]
	s_cbranch_execz .LBB49_9
; %bb.8:
	v_cvt_f32_u32_e32 v2, s2
	s_sub_i32 s3, 0, s2
	v_rcp_iflag_f32_e32 v2, v2
	v_mul_f32_e32 v2, 0x4f7ffffe, v2
	v_cvt_u32_f32_e32 v2, v2
	v_mul_lo_u32 v3, s3, v2
	v_mul_hi_u32 v3, v2, v3
	v_add_u32_e32 v2, v2, v3
	v_mul_hi_u32 v2, v4, v2
	v_mul_lo_u32 v2, v2, s2
	v_sub_u32_e32 v2, v4, v2
	v_subrev_u32_e32 v3, s2, v2
	v_cmp_le_u32_e32 vcc, s2, v2
	v_cndmask_b32_e32 v2, v2, v3, vcc
	v_subrev_u32_e32 v3, s2, v2
	v_cmp_le_u32_e32 vcc, s2, v2
	v_cndmask_b32_e32 v2, v2, v3, vcc
.LBB49_9:
	s_or_b64 exec, exec, s[0:1]
	v_or_b32_e32 v7, s9, v1
	v_mov_b32_e32 v6, 0
	v_cmp_ne_u64_e32 vcc, 0, v[6:7]
                                        ; implicit-def: $vgpr6_vgpr7
	s_and_saveexec_b64 s[0:1], vcc
	s_xor_b64 s[2:3], exec, s[0:1]
	s_cbranch_execz .LBB49_11
; %bb.10:
	s_ashr_i32 s12, s9, 31
	s_add_u32 s0, s6, s12
	s_mov_b32 s13, s12
	s_addc_u32 s1, s9, s12
	s_xor_b64 s[14:15], s[0:1], s[12:13]
	v_cvt_f32_u32_e32 v3, s14
	v_cvt_f32_u32_e32 v6, s15
	s_sub_u32 s9, 0, s14
	s_subb_u32 s13, 0, s15
	v_madmk_f32 v3, v6, 0x4f800000, v3
	v_rcp_f32_e32 v3, v3
	v_mul_f32_e32 v3, 0x5f7ffffc, v3
	v_mul_f32_e32 v6, 0x2f800000, v3
	v_trunc_f32_e32 v6, v6
	v_madmk_f32 v3, v6, 0xcf800000, v3
	v_cvt_u32_f32_e32 v6, v6
	v_cvt_u32_f32_e32 v3, v3
	v_readfirstlane_b32 s16, v6
	v_readfirstlane_b32 s0, v3
	s_mul_i32 s1, s9, s16
	s_mul_hi_u32 s18, s9, s0
	s_mul_i32 s17, s13, s0
	s_add_i32 s1, s18, s1
	s_add_i32 s1, s1, s17
	s_mul_i32 s19, s9, s0
	s_mul_i32 s18, s0, s1
	s_mul_hi_u32 s20, s0, s19
	s_mul_hi_u32 s17, s0, s1
	s_add_u32 s18, s20, s18
	s_addc_u32 s17, 0, s17
	s_mul_hi_u32 s21, s16, s19
	s_mul_i32 s19, s16, s19
	s_add_u32 s18, s18, s19
	s_mul_hi_u32 s20, s16, s1
	s_addc_u32 s17, s17, s21
	s_addc_u32 s18, s20, 0
	s_mul_i32 s1, s16, s1
	s_add_u32 s1, s17, s1
	s_addc_u32 s17, 0, s18
	s_add_u32 s18, s0, s1
	s_cselect_b64 s[0:1], -1, 0
	s_cmp_lg_u64 s[0:1], 0
	s_addc_u32 s16, s16, s17
	s_mul_i32 s0, s9, s16
	s_mul_hi_u32 s1, s9, s18
	s_add_i32 s0, s1, s0
	s_mul_i32 s13, s13, s18
	s_add_i32 s0, s0, s13
	s_mul_i32 s9, s9, s18
	s_mul_hi_u32 s13, s16, s9
	s_mul_i32 s17, s16, s9
	s_mul_i32 s20, s18, s0
	s_mul_hi_u32 s9, s18, s9
	s_mul_hi_u32 s19, s18, s0
	s_add_u32 s9, s9, s20
	s_addc_u32 s19, 0, s19
	s_add_u32 s9, s9, s17
	s_mul_hi_u32 s1, s16, s0
	s_addc_u32 s9, s19, s13
	s_addc_u32 s1, s1, 0
	s_mul_i32 s0, s16, s0
	s_add_u32 s0, s9, s0
	s_addc_u32 s9, 0, s1
	s_add_u32 s13, s18, s0
	s_cselect_b64 s[0:1], -1, 0
	s_cmp_lg_u64 s[0:1], 0
	v_add_co_u32_e32 v3, vcc, v0, v8
	s_addc_u32 s9, s16, s9
	v_xor_b32_e32 v3, v3, v8
	v_mad_u64_u32 v[6:7], s[0:1], v3, s9, 0
	v_mul_hi_u32 v10, v3, s13
	v_addc_co_u32_e32 v9, vcc, v1, v8, vcc
	v_xor_b32_e32 v11, v9, v8
	v_add_co_u32_e32 v12, vcc, v10, v6
	v_addc_co_u32_e32 v13, vcc, 0, v7, vcc
	v_mad_u64_u32 v[6:7], s[0:1], v11, s13, 0
	v_mad_u64_u32 v[9:10], s[0:1], v11, s9, 0
	v_add_co_u32_e32 v6, vcc, v12, v6
	v_addc_co_u32_e32 v6, vcc, v13, v7, vcc
	v_addc_co_u32_e32 v7, vcc, 0, v10, vcc
	v_add_co_u32_e32 v9, vcc, v6, v9
	v_addc_co_u32_e32 v6, vcc, 0, v7, vcc
	v_mul_lo_u32 v10, s15, v9
	v_mul_lo_u32 v12, s14, v6
	v_mad_u64_u32 v[6:7], s[0:1], s14, v9, 0
	v_add3_u32 v7, v7, v12, v10
	v_sub_u32_e32 v10, v11, v7
	v_mov_b32_e32 v12, s15
	v_sub_co_u32_e32 v3, vcc, v3, v6
	v_subb_co_u32_e64 v6, s[0:1], v10, v12, vcc
	v_subrev_co_u32_e64 v10, s[0:1], s14, v3
	v_subbrev_co_u32_e64 v6, s[0:1], 0, v6, s[0:1]
	v_cmp_le_u32_e64 s[0:1], s15, v6
	v_subb_co_u32_e32 v7, vcc, v11, v7, vcc
	v_cndmask_b32_e64 v12, 0, -1, s[0:1]
	v_cmp_le_u32_e64 s[0:1], s14, v10
	v_cmp_le_u32_e32 vcc, s15, v7
	v_cndmask_b32_e64 v10, 0, -1, s[0:1]
	v_cmp_eq_u32_e64 s[0:1], s15, v6
	v_cndmask_b32_e64 v11, 0, -1, vcc
	v_cmp_le_u32_e32 vcc, s14, v3
	v_cndmask_b32_e64 v6, v12, v10, s[0:1]
	v_cndmask_b32_e64 v3, 0, -1, vcc
	v_cmp_eq_u32_e32 vcc, s15, v7
	v_add_co_u32_e64 v10, s[0:1], 2, v9
	v_add_co_u32_e64 v12, s[0:1], 1, v9
	v_cndmask_b32_e32 v3, v11, v3, vcc
	v_cmp_ne_u32_e32 vcc, 0, v6
	v_cndmask_b32_e32 v6, v12, v10, vcc
	v_cmp_ne_u32_e32 vcc, 0, v3
	v_cndmask_b32_e32 v3, v9, v6, vcc
	v_xor_b32_e32 v6, s12, v8
	v_xor_b32_e32 v3, v3, v6
	v_sub_co_u32_e32 v6, vcc, v3, v6
.LBB49_11:
	s_andn2_saveexec_b64 s[0:1], s[2:3]
	s_cbranch_execz .LBB49_13
; %bb.12:
	v_cvt_f32_u32_e32 v3, s6
	s_sub_i32 s2, 0, s6
	v_rcp_iflag_f32_e32 v3, v3
	v_mul_f32_e32 v3, 0x4f7ffffe, v3
	v_cvt_u32_f32_e32 v3, v3
	v_mul_lo_u32 v6, s2, v3
	v_mul_hi_u32 v6, v3, v6
	v_add_u32_e32 v3, v3, v6
	v_mul_hi_u32 v3, v0, v3
	v_mul_lo_u32 v6, v3, s6
	v_add_u32_e32 v7, 1, v3
	v_sub_u32_e32 v6, v0, v6
	v_subrev_u32_e32 v8, s6, v6
	v_cmp_le_u32_e32 vcc, s6, v6
	v_cndmask_b32_e32 v6, v6, v8, vcc
	v_cndmask_b32_e32 v3, v3, v7, vcc
	v_add_u32_e32 v7, 1, v3
	v_cmp_le_u32_e32 vcc, s6, v6
	v_cndmask_b32_e32 v6, v3, v7, vcc
.LBB49_13:
	s_or_b64 exec, exec, s[0:1]
	v_mul_lo_u32 v7, v4, s11
	v_mad_u64_u32 v[3:4], s[0:1], v4, s10, 0
	s_load_dwordx4 s[0:3], s[4:5], 0xb0
	s_load_dword s6, s[4:5], 0xc0
	v_mul_lo_u32 v5, v5, s10
	v_sub_co_u32_e32 v0, vcc, v0, v3
	s_waitcnt lgkmcnt(0)
	s_add_i32 s27, s3, s7
	s_add_i32 s26, s6, s8
	s_load_dwordx16 s[8:23], s[4:5], 0x18
	s_sub_i32 s3, 0, s2
	s_max_i32 s30, s2, 0
	v_max_i32_e32 v3, s2, v0
	s_max_i32 s3, s3, 0
	s_waitcnt lgkmcnt(0)
	s_add_i32 s2, s2, s12
	s_add_i32 s2, s2, -1
	v_min_i32_e32 v3, s2, v3
	s_sub_i32 s2, s3, s30
	v_add3_u32 v4, v4, v7, v5
	s_sub_i32 s6, 0, s1
	s_max_i32 s9, s1, 0
	v_add_u32_e32 v5, s2, v3
	v_max_i32_e32 v3, s1, v2
	s_add_i32 s1, s1, s10
	s_max_i32 s28, s6, 0
	s_add_i32 s1, s1, -1
	v_min_i32_e32 v3, s1, v3
	s_sub_i32 s1, s28, s9
	s_sub_i32 s6, 0, s0
	s_max_i32 s11, s0, 0
	v_add_u32_e32 v7, s1, v3
	v_max_i32_e32 v3, s0, v6
	s_add_i32 s0, s0, s8
	s_max_i32 s29, s6, 0
	s_add_i32 s0, s0, -1
	s_load_dwordx2 s[6:7], s[4:5], 0x0
	v_min_i32_e32 v3, s0, v3
	s_sub_i32 s0, s29, s11
	s_ashr_i32 s28, s26, 31
	v_add_u32_e32 v3, s0, v3
	s_mul_i32 s0, s14, s28
	s_mul_hi_u32 s1, s14, s26
	s_add_i32 s0, s1, s0
	s_mul_i32 s1, s15, s26
	s_add_i32 s1, s0, s1
	s_mul_i32 s0, s14, s26
	s_lshl_b64 s[0:1], s[0:1], 1
	s_waitcnt lgkmcnt(0)
	s_add_u32 s6, s6, s0
	s_addc_u32 s7, s7, s1
	s_ashr_i32 s29, s27, 31
	v_subb_co_u32_e32 v1, vcc, v1, v4, vcc
	s_mul_i32 s0, s16, s29
	s_mul_hi_u32 s1, s16, s27
	v_ashrrev_i32_e32 v4, 31, v3
	s_add_i32 s0, s1, s0
	s_mul_i32 s1, s17, s27
	v_mul_lo_u32 v8, s18, v4
	v_mul_lo_u32 v9, s19, v3
	v_mad_u64_u32 v[3:4], s[2:3], s18, v3, 0
	s_add_i32 s1, s0, s1
	s_mul_i32 s0, s16, s27
	s_lshl_b64 s[0:1], s[0:1], 1
	s_add_u32 s2, s6, s0
	s_addc_u32 s0, s7, s1
	v_add3_u32 v4, v4, v8, v9
	v_ashrrev_i32_e32 v8, 31, v7
	v_mov_b32_e32 v9, s0
	v_mul_lo_u32 v10, s20, v8
	v_mul_lo_u32 v11, s21, v7
	v_mad_u64_u32 v[7:8], s[0:1], s20, v7, 0
	v_lshlrev_b64 v[3:4], 1, v[3:4]
	s_load_dwordx2 s[24:25], s[4:5], 0xa8
	v_add_co_u32_e32 v12, vcc, s2, v3
	v_add3_u32 v8, v8, v10, v11
	v_addc_co_u32_e32 v9, vcc, v9, v4, vcc
	v_lshlrev_b64 v[3:4], 1, v[7:8]
	v_ashrrev_i32_e32 v7, 31, v5
	v_mul_lo_u32 v10, s22, v7
	v_mul_lo_u32 v11, s23, v5
	v_mad_u64_u32 v[7:8], s[0:1], s22, v5, 0
	v_add_co_u32_e32 v5, vcc, v12, v3
	v_add3_u32 v8, v8, v10, v11
	v_addc_co_u32_e32 v9, vcc, v9, v4, vcc
	v_lshlrev_b64 v[3:4], 1, v[7:8]
	v_add_co_u32_e32 v3, vcc, v5, v3
	v_addc_co_u32_e32 v4, vcc, v9, v4, vcc
	global_load_ushort v7, v[3:4], off
	s_load_dwordx8 s[8:15], s[4:5], 0x88
	s_load_dwordx2 s[0:1], s[4:5], 0x58
	v_ashrrev_i32_e32 v3, 31, v6
	s_waitcnt lgkmcnt(0)
	s_mul_i32 s2, s8, s28
	s_mul_hi_u32 s3, s8, s26
	s_add_i32 s2, s3, s2
	s_mul_i32 s3, s9, s26
	s_add_i32 s3, s2, s3
	s_mul_i32 s2, s8, s26
	s_lshl_b64 s[2:3], s[2:3], 1
	s_add_u32 s4, s0, s2
	s_addc_u32 s5, s1, s3
	s_mul_i32 s0, s10, s29
	s_mul_hi_u32 s1, s10, s27
	s_add_i32 s0, s1, s0
	s_mul_i32 s1, s11, s27
	v_mul_lo_u32 v5, s13, v6
	v_mul_lo_u32 v8, s12, v3
	v_mad_u64_u32 v[3:4], s[2:3], s12, v6, 0
	s_add_i32 s1, s0, s1
	s_mul_i32 s0, s10, s27
	s_lshl_b64 s[0:1], s[0:1], 1
	s_add_u32 s2, s4, s0
	s_addc_u32 s0, s5, s1
	v_add3_u32 v4, v4, v8, v5
	v_ashrrev_i32_e32 v5, 31, v2
	v_mov_b32_e32 v8, s0
	v_mul_lo_u32 v9, s15, v2
	v_mul_lo_u32 v10, s14, v5
	v_mad_u64_u32 v[5:6], s[0:1], s14, v2, 0
	v_lshlrev_b64 v[3:4], 1, v[3:4]
	v_add3_u32 v6, v6, v10, v9
	v_add_co_u32_e32 v11, vcc, s2, v3
	v_lshlrev_b64 v[2:3], 1, v[5:6]
	v_mul_lo_u32 v5, s25, v0
	v_mul_lo_u32 v6, s24, v1
	v_mad_u64_u32 v[0:1], s[0:1], s24, v0, 0
	v_addc_co_u32_e32 v4, vcc, v8, v4, vcc
	v_add3_u32 v1, v1, v6, v5
	v_add_co_u32_e32 v2, vcc, v11, v2
	v_lshlrev_b64 v[0:1], 1, v[0:1]
	v_addc_co_u32_e32 v3, vcc, v4, v3, vcc
	v_add_co_u32_e32 v0, vcc, v2, v0
	v_addc_co_u32_e32 v1, vcc, v3, v1, vcc
	s_waitcnt vmcnt(0)
	global_store_short v[0:1], v7, off
.LBB49_14:
	s_endpgm
	.section	.rodata,"a",@progbits
	.p2align	6, 0x0
	.amdhsa_kernel _ZN2at6native12_GLOBAL__N_132replication_pad_forward_kernel3dIN3c104HalfEEEvN5torch10headeronly6detail27GenericPackedTensorAccessorINS7_14TensorAccessorINS3_8ArrayRefIlEEKT_Lm4ENS6_16DefaultPtrTraitsElEENS_6detail16IndexBoundsCheckILm5ElEESD_Lm5ESE_lEENS8_INS9_ISB_SC_Lm4ESE_lEESI_SC_Lm5ESE_lEEiiiii
		.amdhsa_group_segment_fixed_size 0
		.amdhsa_private_segment_fixed_size 0
		.amdhsa_kernarg_size 456
		.amdhsa_user_sgpr_count 6
		.amdhsa_user_sgpr_private_segment_buffer 1
		.amdhsa_user_sgpr_dispatch_ptr 0
		.amdhsa_user_sgpr_queue_ptr 0
		.amdhsa_user_sgpr_kernarg_segment_ptr 1
		.amdhsa_user_sgpr_dispatch_id 0
		.amdhsa_user_sgpr_flat_scratch_init 0
		.amdhsa_user_sgpr_private_segment_size 0
		.amdhsa_uses_dynamic_stack 0
		.amdhsa_system_sgpr_private_segment_wavefront_offset 0
		.amdhsa_system_sgpr_workgroup_id_x 1
		.amdhsa_system_sgpr_workgroup_id_y 1
		.amdhsa_system_sgpr_workgroup_id_z 1
		.amdhsa_system_sgpr_workgroup_info 0
		.amdhsa_system_vgpr_workitem_id 0
		.amdhsa_next_free_vgpr 14
		.amdhsa_next_free_sgpr 31
		.amdhsa_reserve_vcc 1
		.amdhsa_reserve_flat_scratch 0
		.amdhsa_float_round_mode_32 0
		.amdhsa_float_round_mode_16_64 0
		.amdhsa_float_denorm_mode_32 3
		.amdhsa_float_denorm_mode_16_64 3
		.amdhsa_dx10_clamp 1
		.amdhsa_ieee_mode 1
		.amdhsa_fp16_overflow 0
		.amdhsa_exception_fp_ieee_invalid_op 0
		.amdhsa_exception_fp_denorm_src 0
		.amdhsa_exception_fp_ieee_div_zero 0
		.amdhsa_exception_fp_ieee_overflow 0
		.amdhsa_exception_fp_ieee_underflow 0
		.amdhsa_exception_fp_ieee_inexact 0
		.amdhsa_exception_int_div_zero 0
	.end_amdhsa_kernel
	.section	.text._ZN2at6native12_GLOBAL__N_132replication_pad_forward_kernel3dIN3c104HalfEEEvN5torch10headeronly6detail27GenericPackedTensorAccessorINS7_14TensorAccessorINS3_8ArrayRefIlEEKT_Lm4ENS6_16DefaultPtrTraitsElEENS_6detail16IndexBoundsCheckILm5ElEESD_Lm5ESE_lEENS8_INS9_ISB_SC_Lm4ESE_lEESI_SC_Lm5ESE_lEEiiiii,"axG",@progbits,_ZN2at6native12_GLOBAL__N_132replication_pad_forward_kernel3dIN3c104HalfEEEvN5torch10headeronly6detail27GenericPackedTensorAccessorINS7_14TensorAccessorINS3_8ArrayRefIlEEKT_Lm4ENS6_16DefaultPtrTraitsElEENS_6detail16IndexBoundsCheckILm5ElEESD_Lm5ESE_lEENS8_INS9_ISB_SC_Lm4ESE_lEESI_SC_Lm5ESE_lEEiiiii,comdat
.Lfunc_end49:
	.size	_ZN2at6native12_GLOBAL__N_132replication_pad_forward_kernel3dIN3c104HalfEEEvN5torch10headeronly6detail27GenericPackedTensorAccessorINS7_14TensorAccessorINS3_8ArrayRefIlEEKT_Lm4ENS6_16DefaultPtrTraitsElEENS_6detail16IndexBoundsCheckILm5ElEESD_Lm5ESE_lEENS8_INS9_ISB_SC_Lm4ESE_lEESI_SC_Lm5ESE_lEEiiiii, .Lfunc_end49-_ZN2at6native12_GLOBAL__N_132replication_pad_forward_kernel3dIN3c104HalfEEEvN5torch10headeronly6detail27GenericPackedTensorAccessorINS7_14TensorAccessorINS3_8ArrayRefIlEEKT_Lm4ENS6_16DefaultPtrTraitsElEENS_6detail16IndexBoundsCheckILm5ElEESD_Lm5ESE_lEENS8_INS9_ISB_SC_Lm4ESE_lEESI_SC_Lm5ESE_lEEiiiii
                                        ; -- End function
	.set _ZN2at6native12_GLOBAL__N_132replication_pad_forward_kernel3dIN3c104HalfEEEvN5torch10headeronly6detail27GenericPackedTensorAccessorINS7_14TensorAccessorINS3_8ArrayRefIlEEKT_Lm4ENS6_16DefaultPtrTraitsElEENS_6detail16IndexBoundsCheckILm5ElEESD_Lm5ESE_lEENS8_INS9_ISB_SC_Lm4ESE_lEESI_SC_Lm5ESE_lEEiiiii.num_vgpr, 14
	.set _ZN2at6native12_GLOBAL__N_132replication_pad_forward_kernel3dIN3c104HalfEEEvN5torch10headeronly6detail27GenericPackedTensorAccessorINS7_14TensorAccessorINS3_8ArrayRefIlEEKT_Lm4ENS6_16DefaultPtrTraitsElEENS_6detail16IndexBoundsCheckILm5ElEESD_Lm5ESE_lEENS8_INS9_ISB_SC_Lm4ESE_lEESI_SC_Lm5ESE_lEEiiiii.num_agpr, 0
	.set _ZN2at6native12_GLOBAL__N_132replication_pad_forward_kernel3dIN3c104HalfEEEvN5torch10headeronly6detail27GenericPackedTensorAccessorINS7_14TensorAccessorINS3_8ArrayRefIlEEKT_Lm4ENS6_16DefaultPtrTraitsElEENS_6detail16IndexBoundsCheckILm5ElEESD_Lm5ESE_lEENS8_INS9_ISB_SC_Lm4ESE_lEESI_SC_Lm5ESE_lEEiiiii.numbered_sgpr, 31
	.set _ZN2at6native12_GLOBAL__N_132replication_pad_forward_kernel3dIN3c104HalfEEEvN5torch10headeronly6detail27GenericPackedTensorAccessorINS7_14TensorAccessorINS3_8ArrayRefIlEEKT_Lm4ENS6_16DefaultPtrTraitsElEENS_6detail16IndexBoundsCheckILm5ElEESD_Lm5ESE_lEENS8_INS9_ISB_SC_Lm4ESE_lEESI_SC_Lm5ESE_lEEiiiii.num_named_barrier, 0
	.set _ZN2at6native12_GLOBAL__N_132replication_pad_forward_kernel3dIN3c104HalfEEEvN5torch10headeronly6detail27GenericPackedTensorAccessorINS7_14TensorAccessorINS3_8ArrayRefIlEEKT_Lm4ENS6_16DefaultPtrTraitsElEENS_6detail16IndexBoundsCheckILm5ElEESD_Lm5ESE_lEENS8_INS9_ISB_SC_Lm4ESE_lEESI_SC_Lm5ESE_lEEiiiii.private_seg_size, 0
	.set _ZN2at6native12_GLOBAL__N_132replication_pad_forward_kernel3dIN3c104HalfEEEvN5torch10headeronly6detail27GenericPackedTensorAccessorINS7_14TensorAccessorINS3_8ArrayRefIlEEKT_Lm4ENS6_16DefaultPtrTraitsElEENS_6detail16IndexBoundsCheckILm5ElEESD_Lm5ESE_lEENS8_INS9_ISB_SC_Lm4ESE_lEESI_SC_Lm5ESE_lEEiiiii.uses_vcc, 1
	.set _ZN2at6native12_GLOBAL__N_132replication_pad_forward_kernel3dIN3c104HalfEEEvN5torch10headeronly6detail27GenericPackedTensorAccessorINS7_14TensorAccessorINS3_8ArrayRefIlEEKT_Lm4ENS6_16DefaultPtrTraitsElEENS_6detail16IndexBoundsCheckILm5ElEESD_Lm5ESE_lEENS8_INS9_ISB_SC_Lm4ESE_lEESI_SC_Lm5ESE_lEEiiiii.uses_flat_scratch, 0
	.set _ZN2at6native12_GLOBAL__N_132replication_pad_forward_kernel3dIN3c104HalfEEEvN5torch10headeronly6detail27GenericPackedTensorAccessorINS7_14TensorAccessorINS3_8ArrayRefIlEEKT_Lm4ENS6_16DefaultPtrTraitsElEENS_6detail16IndexBoundsCheckILm5ElEESD_Lm5ESE_lEENS8_INS9_ISB_SC_Lm4ESE_lEESI_SC_Lm5ESE_lEEiiiii.has_dyn_sized_stack, 0
	.set _ZN2at6native12_GLOBAL__N_132replication_pad_forward_kernel3dIN3c104HalfEEEvN5torch10headeronly6detail27GenericPackedTensorAccessorINS7_14TensorAccessorINS3_8ArrayRefIlEEKT_Lm4ENS6_16DefaultPtrTraitsElEENS_6detail16IndexBoundsCheckILm5ElEESD_Lm5ESE_lEENS8_INS9_ISB_SC_Lm4ESE_lEESI_SC_Lm5ESE_lEEiiiii.has_recursion, 0
	.set _ZN2at6native12_GLOBAL__N_132replication_pad_forward_kernel3dIN3c104HalfEEEvN5torch10headeronly6detail27GenericPackedTensorAccessorINS7_14TensorAccessorINS3_8ArrayRefIlEEKT_Lm4ENS6_16DefaultPtrTraitsElEENS_6detail16IndexBoundsCheckILm5ElEESD_Lm5ESE_lEENS8_INS9_ISB_SC_Lm4ESE_lEESI_SC_Lm5ESE_lEEiiiii.has_indirect_call, 0
	.section	.AMDGPU.csdata,"",@progbits
; Kernel info:
; codeLenInByte = 2952
; TotalNumSgprs: 35
; NumVgprs: 14
; ScratchSize: 0
; MemoryBound: 0
; FloatMode: 240
; IeeeMode: 1
; LDSByteSize: 0 bytes/workgroup (compile time only)
; SGPRBlocks: 4
; VGPRBlocks: 3
; NumSGPRsForWavesPerEU: 35
; NumVGPRsForWavesPerEU: 14
; Occupancy: 10
; WaveLimiterHint : 1
; COMPUTE_PGM_RSRC2:SCRATCH_EN: 0
; COMPUTE_PGM_RSRC2:USER_SGPR: 6
; COMPUTE_PGM_RSRC2:TRAP_HANDLER: 0
; COMPUTE_PGM_RSRC2:TGID_X_EN: 1
; COMPUTE_PGM_RSRC2:TGID_Y_EN: 1
; COMPUTE_PGM_RSRC2:TGID_Z_EN: 1
; COMPUTE_PGM_RSRC2:TIDIG_COMP_CNT: 0
	.section	.text._ZN2at6native12_GLOBAL__N_132replication_pad_forward_kernel3dIN3c108BFloat16EEEvN5torch10headeronly6detail27GenericPackedTensorAccessorINS7_14TensorAccessorINS3_8ArrayRefIlEEKT_Lm4ENS6_16DefaultPtrTraitsElEENS_6detail16IndexBoundsCheckILm5ElEESD_Lm5ESE_lEENS8_INS9_ISB_SC_Lm4ESE_lEESI_SC_Lm5ESE_lEEiiiii,"axG",@progbits,_ZN2at6native12_GLOBAL__N_132replication_pad_forward_kernel3dIN3c108BFloat16EEEvN5torch10headeronly6detail27GenericPackedTensorAccessorINS7_14TensorAccessorINS3_8ArrayRefIlEEKT_Lm4ENS6_16DefaultPtrTraitsElEENS_6detail16IndexBoundsCheckILm5ElEESD_Lm5ESE_lEENS8_INS9_ISB_SC_Lm4ESE_lEESI_SC_Lm5ESE_lEEiiiii,comdat
	.globl	_ZN2at6native12_GLOBAL__N_132replication_pad_forward_kernel3dIN3c108BFloat16EEEvN5torch10headeronly6detail27GenericPackedTensorAccessorINS7_14TensorAccessorINS3_8ArrayRefIlEEKT_Lm4ENS6_16DefaultPtrTraitsElEENS_6detail16IndexBoundsCheckILm5ElEESD_Lm5ESE_lEENS8_INS9_ISB_SC_Lm4ESE_lEESI_SC_Lm5ESE_lEEiiiii ; -- Begin function _ZN2at6native12_GLOBAL__N_132replication_pad_forward_kernel3dIN3c108BFloat16EEEvN5torch10headeronly6detail27GenericPackedTensorAccessorINS7_14TensorAccessorINS3_8ArrayRefIlEEKT_Lm4ENS6_16DefaultPtrTraitsElEENS_6detail16IndexBoundsCheckILm5ElEESD_Lm5ESE_lEENS8_INS9_ISB_SC_Lm4ESE_lEESI_SC_Lm5ESE_lEEiiiii
	.p2align	8
	.type	_ZN2at6native12_GLOBAL__N_132replication_pad_forward_kernel3dIN3c108BFloat16EEEvN5torch10headeronly6detail27GenericPackedTensorAccessorINS7_14TensorAccessorINS3_8ArrayRefIlEEKT_Lm4ENS6_16DefaultPtrTraitsElEENS_6detail16IndexBoundsCheckILm5ElEESD_Lm5ESE_lEENS8_INS9_ISB_SC_Lm4ESE_lEESI_SC_Lm5ESE_lEEiiiii,@function
_ZN2at6native12_GLOBAL__N_132replication_pad_forward_kernel3dIN3c108BFloat16EEEvN5torch10headeronly6detail27GenericPackedTensorAccessorINS7_14TensorAccessorINS3_8ArrayRefIlEEKT_Lm4ENS6_16DefaultPtrTraitsElEENS_6detail16IndexBoundsCheckILm5ElEESD_Lm5ESE_lEENS8_INS9_ISB_SC_Lm4ESE_lEESI_SC_Lm5ESE_lEEiiiii: ; @_ZN2at6native12_GLOBAL__N_132replication_pad_forward_kernel3dIN3c108BFloat16EEEvN5torch10headeronly6detail27GenericPackedTensorAccessorINS7_14TensorAccessorINS3_8ArrayRefIlEEKT_Lm4ENS6_16DefaultPtrTraitsElEENS_6detail16IndexBoundsCheckILm5ElEESD_Lm5ESE_lEENS8_INS9_ISB_SC_Lm4ESE_lEESI_SC_Lm5ESE_lEEiiiii
; %bb.0:
	s_load_dword s9, s[4:5], 0xd4
	s_load_dwordx4 s[0:3], s[4:5], 0x70
	s_load_dwordx2 s[10:11], s[4:5], 0x80
	s_waitcnt lgkmcnt(0)
	s_and_b32 s9, s9, 0xffff
	s_mul_i32 s6, s6, s9
	v_add_u32_e32 v0, s6, v0
	s_mul_i32 s6, s10, s3
	s_mul_hi_u32 s9, s10, s2
	s_add_i32 s9, s9, s6
	s_mul_i32 s6, s11, s2
	s_add_i32 s9, s9, s6
	s_mul_i32 s6, s10, s2
	s_mul_i32 s1, s6, s1
	s_mul_hi_u32 s12, s6, s0
	s_add_i32 s1, s12, s1
	s_mul_i32 s12, s9, s0
	v_ashrrev_i32_e32 v1, 31, v0
	s_add_i32 s1, s1, s12
	s_mul_i32 s0, s6, s0
	v_cmp_gt_i64_e32 vcc, s[0:1], v[0:1]
	s_and_saveexec_b64 s[0:1], vcc
	s_cbranch_execz .LBB50_14
; %bb.1:
	v_or_b32_e32 v3, s11, v1
	v_mov_b32_e32 v2, 0
	v_cmp_ne_u64_e32 vcc, 0, v[2:3]
	v_ashrrev_i32_e32 v8, 31, v1
                                        ; implicit-def: $vgpr4_vgpr5
	s_and_saveexec_b64 s[0:1], vcc
	s_xor_b64 s[12:13], exec, s[0:1]
	s_cbranch_execz .LBB50_3
; %bb.2:
	s_ashr_i32 s14, s11, 31
	s_add_u32 s0, s10, s14
	s_mov_b32 s15, s14
	s_addc_u32 s1, s11, s14
	s_xor_b64 s[16:17], s[0:1], s[14:15]
	v_cvt_f32_u32_e32 v2, s16
	v_cvt_f32_u32_e32 v3, s17
	s_sub_u32 s15, 0, s16
	s_subb_u32 s18, 0, s17
	v_madmk_f32 v2, v3, 0x4f800000, v2
	v_rcp_f32_e32 v2, v2
	v_mul_f32_e32 v2, 0x5f7ffffc, v2
	v_mul_f32_e32 v3, 0x2f800000, v2
	v_trunc_f32_e32 v3, v3
	v_madmk_f32 v2, v3, 0xcf800000, v2
	v_cvt_u32_f32_e32 v3, v3
	v_cvt_u32_f32_e32 v2, v2
	v_readfirstlane_b32 s19, v3
	v_readfirstlane_b32 s0, v2
	s_mul_i32 s1, s15, s19
	s_mul_hi_u32 s21, s15, s0
	s_mul_i32 s20, s18, s0
	s_add_i32 s1, s21, s1
	s_add_i32 s1, s1, s20
	s_mul_i32 s22, s15, s0
	s_mul_i32 s21, s0, s1
	s_mul_hi_u32 s23, s0, s22
	s_mul_hi_u32 s20, s0, s1
	s_add_u32 s21, s23, s21
	s_addc_u32 s20, 0, s20
	s_mul_hi_u32 s24, s19, s22
	s_mul_i32 s22, s19, s22
	s_add_u32 s21, s21, s22
	s_mul_hi_u32 s23, s19, s1
	s_addc_u32 s20, s20, s24
	s_addc_u32 s21, s23, 0
	s_mul_i32 s1, s19, s1
	s_add_u32 s1, s20, s1
	s_addc_u32 s20, 0, s21
	s_add_u32 s21, s0, s1
	s_cselect_b64 s[0:1], -1, 0
	s_cmp_lg_u64 s[0:1], 0
	s_addc_u32 s19, s19, s20
	s_mul_i32 s0, s15, s19
	s_mul_hi_u32 s1, s15, s21
	s_add_i32 s0, s1, s0
	s_mul_i32 s18, s18, s21
	s_add_i32 s0, s0, s18
	s_mul_i32 s15, s15, s21
	s_mul_hi_u32 s18, s19, s15
	s_mul_i32 s20, s19, s15
	s_mul_i32 s23, s21, s0
	s_mul_hi_u32 s15, s21, s15
	s_mul_hi_u32 s22, s21, s0
	s_add_u32 s15, s15, s23
	s_addc_u32 s22, 0, s22
	s_add_u32 s15, s15, s20
	s_mul_hi_u32 s1, s19, s0
	s_addc_u32 s15, s22, s18
	s_addc_u32 s1, s1, 0
	s_mul_i32 s0, s19, s0
	s_add_u32 s0, s15, s0
	s_addc_u32 s15, 0, s1
	s_add_u32 s18, s21, s0
	s_cselect_b64 s[0:1], -1, 0
	s_cmp_lg_u64 s[0:1], 0
	v_add_co_u32_e32 v2, vcc, v0, v8
	s_addc_u32 s15, s19, s15
	v_xor_b32_e32 v6, v2, v8
	v_mad_u64_u32 v[2:3], s[0:1], v6, s15, 0
	v_mul_hi_u32 v5, v6, s18
	v_addc_co_u32_e32 v4, vcc, v1, v8, vcc
	v_xor_b32_e32 v7, v4, v8
	v_add_co_u32_e32 v9, vcc, v5, v2
	v_addc_co_u32_e32 v10, vcc, 0, v3, vcc
	v_mad_u64_u32 v[2:3], s[0:1], v7, s18, 0
	v_mad_u64_u32 v[4:5], s[0:1], v7, s15, 0
	v_add_co_u32_e32 v2, vcc, v9, v2
	v_addc_co_u32_e32 v2, vcc, v10, v3, vcc
	v_addc_co_u32_e32 v3, vcc, 0, v5, vcc
	v_add_co_u32_e32 v4, vcc, v2, v4
	v_addc_co_u32_e32 v5, vcc, 0, v3, vcc
	v_mul_lo_u32 v9, s17, v4
	v_mul_lo_u32 v10, s16, v5
	v_mad_u64_u32 v[2:3], s[0:1], s16, v4, 0
	v_add3_u32 v3, v3, v10, v9
	v_sub_u32_e32 v9, v7, v3
	v_mov_b32_e32 v10, s17
	v_sub_co_u32_e32 v2, vcc, v6, v2
	v_subb_co_u32_e64 v6, s[0:1], v9, v10, vcc
	v_subrev_co_u32_e64 v9, s[0:1], s16, v2
	v_subbrev_co_u32_e64 v6, s[0:1], 0, v6, s[0:1]
	v_cmp_le_u32_e64 s[0:1], s17, v6
	v_cndmask_b32_e64 v10, 0, -1, s[0:1]
	v_cmp_le_u32_e64 s[0:1], s16, v9
	v_cndmask_b32_e64 v9, 0, -1, s[0:1]
	v_cmp_eq_u32_e64 s[0:1], s17, v6
	v_cndmask_b32_e64 v6, v10, v9, s[0:1]
	v_add_co_u32_e64 v9, s[0:1], 2, v4
	v_subb_co_u32_e32 v3, vcc, v7, v3, vcc
	v_addc_co_u32_e64 v10, s[0:1], 0, v5, s[0:1]
	v_cmp_le_u32_e32 vcc, s17, v3
	v_add_co_u32_e64 v11, s[0:1], 1, v4
	v_cndmask_b32_e64 v7, 0, -1, vcc
	v_cmp_le_u32_e32 vcc, s16, v2
	v_addc_co_u32_e64 v12, s[0:1], 0, v5, s[0:1]
	v_cndmask_b32_e64 v2, 0, -1, vcc
	v_cmp_eq_u32_e32 vcc, s17, v3
	v_cmp_ne_u32_e64 s[0:1], 0, v6
	v_cndmask_b32_e32 v2, v7, v2, vcc
	v_cndmask_b32_e64 v6, v12, v10, s[0:1]
	v_cmp_ne_u32_e32 vcc, 0, v2
	v_cndmask_b32_e64 v3, v11, v9, s[0:1]
	v_cndmask_b32_e32 v2, v5, v6, vcc
	v_cndmask_b32_e32 v3, v4, v3, vcc
	v_xor_b32_e32 v5, s14, v8
	v_xor_b32_e32 v3, v3, v5
	;; [unrolled: 1-line block ×3, first 2 shown]
	v_sub_co_u32_e32 v4, vcc, v3, v5
	v_subb_co_u32_e32 v5, vcc, v2, v5, vcc
.LBB50_3:
	s_andn2_saveexec_b64 s[0:1], s[12:13]
	s_cbranch_execz .LBB50_5
; %bb.4:
	v_cvt_f32_u32_e32 v2, s10
	s_sub_i32 s12, 0, s10
	v_rcp_iflag_f32_e32 v2, v2
	v_mul_f32_e32 v2, 0x4f7ffffe, v2
	v_cvt_u32_f32_e32 v2, v2
	v_mul_lo_u32 v3, s12, v2
	v_mul_hi_u32 v3, v2, v3
	v_add_u32_e32 v2, v2, v3
	v_mul_hi_u32 v2, v0, v2
	v_mul_lo_u32 v3, v2, s10
	v_add_u32_e32 v4, 1, v2
	v_sub_u32_e32 v3, v0, v3
	v_subrev_u32_e32 v5, s10, v3
	v_cmp_le_u32_e32 vcc, s10, v3
	v_cndmask_b32_e32 v3, v3, v5, vcc
	v_cndmask_b32_e32 v2, v2, v4, vcc
	v_add_u32_e32 v4, 1, v2
	v_cmp_le_u32_e32 vcc, s10, v3
	v_cndmask_b32_e32 v4, v2, v4, vcc
	v_mov_b32_e32 v5, 0
.LBB50_5:
	s_or_b64 exec, exec, s[0:1]
	v_or_b32_e32 v3, s3, v5
	v_mov_b32_e32 v2, 0
	v_cmp_ne_u64_e32 vcc, 0, v[2:3]
                                        ; implicit-def: $vgpr2_vgpr3
	s_and_saveexec_b64 s[0:1], vcc
	s_xor_b64 s[12:13], exec, s[0:1]
	s_cbranch_execz .LBB50_7
; %bb.6:
	s_ashr_i32 s0, s3, 31
	s_add_u32 s14, s2, s0
	s_mov_b32 s1, s0
	s_addc_u32 s15, s3, s0
	s_xor_b64 s[14:15], s[14:15], s[0:1]
	v_cvt_f32_u32_e32 v2, s14
	v_cvt_f32_u32_e32 v3, s15
	s_sub_u32 s3, 0, s14
	s_subb_u32 s16, 0, s15
	v_ashrrev_i32_e32 v9, 31, v5
	v_madmk_f32 v2, v3, 0x4f800000, v2
	v_rcp_f32_e32 v2, v2
	v_mul_f32_e32 v2, 0x5f7ffffc, v2
	v_mul_f32_e32 v3, 0x2f800000, v2
	v_trunc_f32_e32 v3, v3
	v_madmk_f32 v2, v3, 0xcf800000, v2
	v_cvt_u32_f32_e32 v3, v3
	v_cvt_u32_f32_e32 v2, v2
	v_readfirstlane_b32 s17, v3
	v_readfirstlane_b32 s0, v2
	s_mul_i32 s1, s3, s17
	s_mul_hi_u32 s19, s3, s0
	s_mul_i32 s18, s16, s0
	s_add_i32 s1, s19, s1
	s_add_i32 s1, s1, s18
	s_mul_i32 s20, s3, s0
	s_mul_i32 s19, s0, s1
	s_mul_hi_u32 s21, s0, s20
	s_mul_hi_u32 s18, s0, s1
	s_add_u32 s19, s21, s19
	s_addc_u32 s18, 0, s18
	s_mul_hi_u32 s22, s17, s20
	s_mul_i32 s20, s17, s20
	s_add_u32 s19, s19, s20
	s_mul_hi_u32 s21, s17, s1
	s_addc_u32 s18, s18, s22
	s_addc_u32 s19, s21, 0
	s_mul_i32 s1, s17, s1
	s_add_u32 s1, s18, s1
	s_addc_u32 s18, 0, s19
	s_add_u32 s19, s0, s1
	s_cselect_b64 s[0:1], -1, 0
	s_cmp_lg_u64 s[0:1], 0
	s_addc_u32 s17, s17, s18
	s_mul_i32 s0, s3, s17
	s_mul_hi_u32 s1, s3, s19
	s_add_i32 s0, s1, s0
	s_mul_i32 s16, s16, s19
	s_add_i32 s0, s0, s16
	s_mul_i32 s3, s3, s19
	s_mul_hi_u32 s16, s17, s3
	s_mul_i32 s18, s17, s3
	s_mul_i32 s21, s19, s0
	s_mul_hi_u32 s3, s19, s3
	s_mul_hi_u32 s20, s19, s0
	s_add_u32 s3, s3, s21
	s_addc_u32 s20, 0, s20
	s_add_u32 s3, s3, s18
	s_mul_hi_u32 s1, s17, s0
	s_addc_u32 s3, s20, s16
	s_addc_u32 s1, s1, 0
	s_mul_i32 s0, s17, s0
	s_add_u32 s0, s3, s0
	s_addc_u32 s3, 0, s1
	s_add_u32 s16, s19, s0
	s_cselect_b64 s[0:1], -1, 0
	s_cmp_lg_u64 s[0:1], 0
	v_add_co_u32_e32 v2, vcc, v4, v9
	s_addc_u32 s3, s17, s3
	v_xor_b32_e32 v10, v2, v9
	v_mad_u64_u32 v[2:3], s[0:1], v10, s3, 0
	v_mul_hi_u32 v7, v10, s16
	v_addc_co_u32_e32 v6, vcc, v5, v9, vcc
	v_xor_b32_e32 v11, v6, v9
	v_add_co_u32_e32 v12, vcc, v7, v2
	v_addc_co_u32_e32 v13, vcc, 0, v3, vcc
	v_mad_u64_u32 v[2:3], s[0:1], v11, s16, 0
	v_mad_u64_u32 v[6:7], s[0:1], v11, s3, 0
	v_add_co_u32_e32 v2, vcc, v12, v2
	v_addc_co_u32_e32 v2, vcc, v13, v3, vcc
	v_addc_co_u32_e32 v3, vcc, 0, v7, vcc
	v_add_co_u32_e32 v2, vcc, v2, v6
	v_addc_co_u32_e32 v3, vcc, 0, v3, vcc
	v_mul_lo_u32 v6, s15, v2
	v_mul_lo_u32 v7, s14, v3
	v_mad_u64_u32 v[2:3], s[0:1], s14, v2, 0
	v_add3_u32 v3, v3, v7, v6
	v_sub_u32_e32 v6, v11, v3
	v_mov_b32_e32 v7, s15
	v_sub_co_u32_e32 v2, vcc, v10, v2
	v_subb_co_u32_e64 v6, s[0:1], v6, v7, vcc
	v_subrev_co_u32_e64 v7, s[0:1], s14, v2
	v_subbrev_co_u32_e64 v6, s[0:1], 0, v6, s[0:1]
	v_cmp_le_u32_e64 s[0:1], s15, v6
	v_subb_co_u32_e32 v3, vcc, v11, v3, vcc
	v_cndmask_b32_e64 v10, 0, -1, s[0:1]
	v_cmp_le_u32_e64 s[0:1], s14, v7
	v_cmp_le_u32_e32 vcc, s15, v3
	v_cndmask_b32_e64 v12, 0, -1, s[0:1]
	v_cmp_eq_u32_e64 s[0:1], s15, v6
	v_cndmask_b32_e64 v11, 0, -1, vcc
	v_cmp_le_u32_e32 vcc, s14, v2
	v_cndmask_b32_e64 v6, v10, v12, s[0:1]
	v_cndmask_b32_e64 v12, 0, -1, vcc
	v_cmp_eq_u32_e32 vcc, s15, v3
	v_subrev_co_u32_e64 v10, s[0:1], s14, v7
	v_cndmask_b32_e32 v3, v11, v12, vcc
	v_cmp_ne_u32_e32 vcc, 0, v6
	v_cndmask_b32_e32 v6, v7, v10, vcc
	v_cmp_ne_u32_e32 vcc, 0, v3
	v_cndmask_b32_e32 v2, v2, v6, vcc
	v_xor_b32_e32 v2, v2, v9
	v_sub_co_u32_e32 v2, vcc, v2, v9
.LBB50_7:
	s_andn2_saveexec_b64 s[0:1], s[12:13]
	s_cbranch_execz .LBB50_9
; %bb.8:
	v_cvt_f32_u32_e32 v2, s2
	s_sub_i32 s3, 0, s2
	v_rcp_iflag_f32_e32 v2, v2
	v_mul_f32_e32 v2, 0x4f7ffffe, v2
	v_cvt_u32_f32_e32 v2, v2
	v_mul_lo_u32 v3, s3, v2
	v_mul_hi_u32 v3, v2, v3
	v_add_u32_e32 v2, v2, v3
	v_mul_hi_u32 v2, v4, v2
	v_mul_lo_u32 v2, v2, s2
	v_sub_u32_e32 v2, v4, v2
	v_subrev_u32_e32 v3, s2, v2
	v_cmp_le_u32_e32 vcc, s2, v2
	v_cndmask_b32_e32 v2, v2, v3, vcc
	v_subrev_u32_e32 v3, s2, v2
	v_cmp_le_u32_e32 vcc, s2, v2
	v_cndmask_b32_e32 v2, v2, v3, vcc
.LBB50_9:
	s_or_b64 exec, exec, s[0:1]
	v_or_b32_e32 v7, s9, v1
	v_mov_b32_e32 v6, 0
	v_cmp_ne_u64_e32 vcc, 0, v[6:7]
                                        ; implicit-def: $vgpr6_vgpr7
	s_and_saveexec_b64 s[0:1], vcc
	s_xor_b64 s[2:3], exec, s[0:1]
	s_cbranch_execz .LBB50_11
; %bb.10:
	s_ashr_i32 s12, s9, 31
	s_add_u32 s0, s6, s12
	s_mov_b32 s13, s12
	s_addc_u32 s1, s9, s12
	s_xor_b64 s[14:15], s[0:1], s[12:13]
	v_cvt_f32_u32_e32 v3, s14
	v_cvt_f32_u32_e32 v6, s15
	s_sub_u32 s9, 0, s14
	s_subb_u32 s13, 0, s15
	v_madmk_f32 v3, v6, 0x4f800000, v3
	v_rcp_f32_e32 v3, v3
	v_mul_f32_e32 v3, 0x5f7ffffc, v3
	v_mul_f32_e32 v6, 0x2f800000, v3
	v_trunc_f32_e32 v6, v6
	v_madmk_f32 v3, v6, 0xcf800000, v3
	v_cvt_u32_f32_e32 v6, v6
	v_cvt_u32_f32_e32 v3, v3
	v_readfirstlane_b32 s16, v6
	v_readfirstlane_b32 s0, v3
	s_mul_i32 s1, s9, s16
	s_mul_hi_u32 s18, s9, s0
	s_mul_i32 s17, s13, s0
	s_add_i32 s1, s18, s1
	s_add_i32 s1, s1, s17
	s_mul_i32 s19, s9, s0
	s_mul_i32 s18, s0, s1
	s_mul_hi_u32 s20, s0, s19
	s_mul_hi_u32 s17, s0, s1
	s_add_u32 s18, s20, s18
	s_addc_u32 s17, 0, s17
	s_mul_hi_u32 s21, s16, s19
	s_mul_i32 s19, s16, s19
	s_add_u32 s18, s18, s19
	s_mul_hi_u32 s20, s16, s1
	s_addc_u32 s17, s17, s21
	s_addc_u32 s18, s20, 0
	s_mul_i32 s1, s16, s1
	s_add_u32 s1, s17, s1
	s_addc_u32 s17, 0, s18
	s_add_u32 s18, s0, s1
	s_cselect_b64 s[0:1], -1, 0
	s_cmp_lg_u64 s[0:1], 0
	s_addc_u32 s16, s16, s17
	s_mul_i32 s0, s9, s16
	s_mul_hi_u32 s1, s9, s18
	s_add_i32 s0, s1, s0
	s_mul_i32 s13, s13, s18
	s_add_i32 s0, s0, s13
	s_mul_i32 s9, s9, s18
	s_mul_hi_u32 s13, s16, s9
	s_mul_i32 s17, s16, s9
	s_mul_i32 s20, s18, s0
	s_mul_hi_u32 s9, s18, s9
	s_mul_hi_u32 s19, s18, s0
	s_add_u32 s9, s9, s20
	s_addc_u32 s19, 0, s19
	s_add_u32 s9, s9, s17
	s_mul_hi_u32 s1, s16, s0
	s_addc_u32 s9, s19, s13
	s_addc_u32 s1, s1, 0
	s_mul_i32 s0, s16, s0
	s_add_u32 s0, s9, s0
	s_addc_u32 s9, 0, s1
	s_add_u32 s13, s18, s0
	s_cselect_b64 s[0:1], -1, 0
	s_cmp_lg_u64 s[0:1], 0
	v_add_co_u32_e32 v3, vcc, v0, v8
	s_addc_u32 s9, s16, s9
	v_xor_b32_e32 v3, v3, v8
	v_mad_u64_u32 v[6:7], s[0:1], v3, s9, 0
	v_mul_hi_u32 v10, v3, s13
	v_addc_co_u32_e32 v9, vcc, v1, v8, vcc
	v_xor_b32_e32 v11, v9, v8
	v_add_co_u32_e32 v12, vcc, v10, v6
	v_addc_co_u32_e32 v13, vcc, 0, v7, vcc
	v_mad_u64_u32 v[6:7], s[0:1], v11, s13, 0
	v_mad_u64_u32 v[9:10], s[0:1], v11, s9, 0
	v_add_co_u32_e32 v6, vcc, v12, v6
	v_addc_co_u32_e32 v6, vcc, v13, v7, vcc
	v_addc_co_u32_e32 v7, vcc, 0, v10, vcc
	v_add_co_u32_e32 v9, vcc, v6, v9
	v_addc_co_u32_e32 v6, vcc, 0, v7, vcc
	v_mul_lo_u32 v10, s15, v9
	v_mul_lo_u32 v12, s14, v6
	v_mad_u64_u32 v[6:7], s[0:1], s14, v9, 0
	v_add3_u32 v7, v7, v12, v10
	v_sub_u32_e32 v10, v11, v7
	v_mov_b32_e32 v12, s15
	v_sub_co_u32_e32 v3, vcc, v3, v6
	v_subb_co_u32_e64 v6, s[0:1], v10, v12, vcc
	v_subrev_co_u32_e64 v10, s[0:1], s14, v3
	v_subbrev_co_u32_e64 v6, s[0:1], 0, v6, s[0:1]
	v_cmp_le_u32_e64 s[0:1], s15, v6
	v_subb_co_u32_e32 v7, vcc, v11, v7, vcc
	v_cndmask_b32_e64 v12, 0, -1, s[0:1]
	v_cmp_le_u32_e64 s[0:1], s14, v10
	v_cmp_le_u32_e32 vcc, s15, v7
	v_cndmask_b32_e64 v10, 0, -1, s[0:1]
	v_cmp_eq_u32_e64 s[0:1], s15, v6
	v_cndmask_b32_e64 v11, 0, -1, vcc
	v_cmp_le_u32_e32 vcc, s14, v3
	v_cndmask_b32_e64 v6, v12, v10, s[0:1]
	v_cndmask_b32_e64 v3, 0, -1, vcc
	v_cmp_eq_u32_e32 vcc, s15, v7
	v_add_co_u32_e64 v10, s[0:1], 2, v9
	v_add_co_u32_e64 v12, s[0:1], 1, v9
	v_cndmask_b32_e32 v3, v11, v3, vcc
	v_cmp_ne_u32_e32 vcc, 0, v6
	v_cndmask_b32_e32 v6, v12, v10, vcc
	v_cmp_ne_u32_e32 vcc, 0, v3
	v_cndmask_b32_e32 v3, v9, v6, vcc
	v_xor_b32_e32 v6, s12, v8
	v_xor_b32_e32 v3, v3, v6
	v_sub_co_u32_e32 v6, vcc, v3, v6
.LBB50_11:
	s_andn2_saveexec_b64 s[0:1], s[2:3]
	s_cbranch_execz .LBB50_13
; %bb.12:
	v_cvt_f32_u32_e32 v3, s6
	s_sub_i32 s2, 0, s6
	v_rcp_iflag_f32_e32 v3, v3
	v_mul_f32_e32 v3, 0x4f7ffffe, v3
	v_cvt_u32_f32_e32 v3, v3
	v_mul_lo_u32 v6, s2, v3
	v_mul_hi_u32 v6, v3, v6
	v_add_u32_e32 v3, v3, v6
	v_mul_hi_u32 v3, v0, v3
	v_mul_lo_u32 v6, v3, s6
	v_add_u32_e32 v7, 1, v3
	v_sub_u32_e32 v6, v0, v6
	v_subrev_u32_e32 v8, s6, v6
	v_cmp_le_u32_e32 vcc, s6, v6
	v_cndmask_b32_e32 v6, v6, v8, vcc
	v_cndmask_b32_e32 v3, v3, v7, vcc
	v_add_u32_e32 v7, 1, v3
	v_cmp_le_u32_e32 vcc, s6, v6
	v_cndmask_b32_e32 v6, v3, v7, vcc
.LBB50_13:
	s_or_b64 exec, exec, s[0:1]
	v_mul_lo_u32 v7, v4, s11
	v_mad_u64_u32 v[3:4], s[0:1], v4, s10, 0
	s_load_dwordx4 s[0:3], s[4:5], 0xb0
	s_load_dword s6, s[4:5], 0xc0
	v_mul_lo_u32 v5, v5, s10
	v_sub_co_u32_e32 v0, vcc, v0, v3
	s_waitcnt lgkmcnt(0)
	s_add_i32 s27, s3, s7
	s_add_i32 s26, s6, s8
	s_load_dwordx16 s[8:23], s[4:5], 0x18
	s_sub_i32 s3, 0, s2
	s_max_i32 s30, s2, 0
	v_max_i32_e32 v3, s2, v0
	s_max_i32 s3, s3, 0
	s_waitcnt lgkmcnt(0)
	s_add_i32 s2, s2, s12
	s_add_i32 s2, s2, -1
	v_min_i32_e32 v3, s2, v3
	s_sub_i32 s2, s3, s30
	v_add3_u32 v4, v4, v7, v5
	s_sub_i32 s6, 0, s1
	s_max_i32 s9, s1, 0
	v_add_u32_e32 v5, s2, v3
	v_max_i32_e32 v3, s1, v2
	s_add_i32 s1, s1, s10
	s_max_i32 s28, s6, 0
	s_add_i32 s1, s1, -1
	v_min_i32_e32 v3, s1, v3
	s_sub_i32 s1, s28, s9
	s_sub_i32 s6, 0, s0
	s_max_i32 s11, s0, 0
	v_add_u32_e32 v7, s1, v3
	v_max_i32_e32 v3, s0, v6
	s_add_i32 s0, s0, s8
	s_max_i32 s29, s6, 0
	s_add_i32 s0, s0, -1
	s_load_dwordx2 s[6:7], s[4:5], 0x0
	v_min_i32_e32 v3, s0, v3
	s_sub_i32 s0, s29, s11
	s_ashr_i32 s28, s26, 31
	v_add_u32_e32 v3, s0, v3
	s_mul_i32 s0, s14, s28
	s_mul_hi_u32 s1, s14, s26
	s_add_i32 s0, s1, s0
	s_mul_i32 s1, s15, s26
	s_add_i32 s1, s0, s1
	s_mul_i32 s0, s14, s26
	s_lshl_b64 s[0:1], s[0:1], 1
	s_waitcnt lgkmcnt(0)
	s_add_u32 s6, s6, s0
	s_addc_u32 s7, s7, s1
	s_ashr_i32 s29, s27, 31
	v_subb_co_u32_e32 v1, vcc, v1, v4, vcc
	s_mul_i32 s0, s16, s29
	s_mul_hi_u32 s1, s16, s27
	v_ashrrev_i32_e32 v4, 31, v3
	s_add_i32 s0, s1, s0
	s_mul_i32 s1, s17, s27
	v_mul_lo_u32 v8, s18, v4
	v_mul_lo_u32 v9, s19, v3
	v_mad_u64_u32 v[3:4], s[2:3], s18, v3, 0
	s_add_i32 s1, s0, s1
	s_mul_i32 s0, s16, s27
	s_lshl_b64 s[0:1], s[0:1], 1
	s_add_u32 s2, s6, s0
	s_addc_u32 s0, s7, s1
	v_add3_u32 v4, v4, v8, v9
	v_ashrrev_i32_e32 v8, 31, v7
	v_mov_b32_e32 v9, s0
	v_mul_lo_u32 v10, s20, v8
	v_mul_lo_u32 v11, s21, v7
	v_mad_u64_u32 v[7:8], s[0:1], s20, v7, 0
	v_lshlrev_b64 v[3:4], 1, v[3:4]
	s_load_dwordx2 s[24:25], s[4:5], 0xa8
	v_add_co_u32_e32 v12, vcc, s2, v3
	v_add3_u32 v8, v8, v10, v11
	v_addc_co_u32_e32 v9, vcc, v9, v4, vcc
	v_lshlrev_b64 v[3:4], 1, v[7:8]
	v_ashrrev_i32_e32 v7, 31, v5
	v_mul_lo_u32 v10, s22, v7
	v_mul_lo_u32 v11, s23, v5
	v_mad_u64_u32 v[7:8], s[0:1], s22, v5, 0
	v_add_co_u32_e32 v5, vcc, v12, v3
	v_add3_u32 v8, v8, v10, v11
	v_addc_co_u32_e32 v9, vcc, v9, v4, vcc
	v_lshlrev_b64 v[3:4], 1, v[7:8]
	v_add_co_u32_e32 v3, vcc, v5, v3
	v_addc_co_u32_e32 v4, vcc, v9, v4, vcc
	global_load_ushort v7, v[3:4], off
	s_load_dwordx8 s[8:15], s[4:5], 0x88
	s_load_dwordx2 s[0:1], s[4:5], 0x58
	v_ashrrev_i32_e32 v3, 31, v6
	s_waitcnt lgkmcnt(0)
	s_mul_i32 s2, s8, s28
	s_mul_hi_u32 s3, s8, s26
	s_add_i32 s2, s3, s2
	s_mul_i32 s3, s9, s26
	s_add_i32 s3, s2, s3
	s_mul_i32 s2, s8, s26
	s_lshl_b64 s[2:3], s[2:3], 1
	s_add_u32 s4, s0, s2
	s_addc_u32 s5, s1, s3
	s_mul_i32 s0, s10, s29
	s_mul_hi_u32 s1, s10, s27
	s_add_i32 s0, s1, s0
	s_mul_i32 s1, s11, s27
	v_mul_lo_u32 v5, s13, v6
	v_mul_lo_u32 v8, s12, v3
	v_mad_u64_u32 v[3:4], s[2:3], s12, v6, 0
	s_add_i32 s1, s0, s1
	s_mul_i32 s0, s10, s27
	s_lshl_b64 s[0:1], s[0:1], 1
	s_add_u32 s2, s4, s0
	s_addc_u32 s0, s5, s1
	v_add3_u32 v4, v4, v8, v5
	v_ashrrev_i32_e32 v5, 31, v2
	v_mov_b32_e32 v8, s0
	v_mul_lo_u32 v9, s15, v2
	v_mul_lo_u32 v10, s14, v5
	v_mad_u64_u32 v[5:6], s[0:1], s14, v2, 0
	v_lshlrev_b64 v[3:4], 1, v[3:4]
	v_add3_u32 v6, v6, v10, v9
	v_add_co_u32_e32 v11, vcc, s2, v3
	v_lshlrev_b64 v[2:3], 1, v[5:6]
	v_mul_lo_u32 v5, s25, v0
	v_mul_lo_u32 v6, s24, v1
	v_mad_u64_u32 v[0:1], s[0:1], s24, v0, 0
	v_addc_co_u32_e32 v4, vcc, v8, v4, vcc
	v_add3_u32 v1, v1, v6, v5
	v_add_co_u32_e32 v2, vcc, v11, v2
	v_lshlrev_b64 v[0:1], 1, v[0:1]
	v_addc_co_u32_e32 v3, vcc, v4, v3, vcc
	v_add_co_u32_e32 v0, vcc, v2, v0
	v_addc_co_u32_e32 v1, vcc, v3, v1, vcc
	s_waitcnt vmcnt(0)
	global_store_short v[0:1], v7, off
.LBB50_14:
	s_endpgm
	.section	.rodata,"a",@progbits
	.p2align	6, 0x0
	.amdhsa_kernel _ZN2at6native12_GLOBAL__N_132replication_pad_forward_kernel3dIN3c108BFloat16EEEvN5torch10headeronly6detail27GenericPackedTensorAccessorINS7_14TensorAccessorINS3_8ArrayRefIlEEKT_Lm4ENS6_16DefaultPtrTraitsElEENS_6detail16IndexBoundsCheckILm5ElEESD_Lm5ESE_lEENS8_INS9_ISB_SC_Lm4ESE_lEESI_SC_Lm5ESE_lEEiiiii
		.amdhsa_group_segment_fixed_size 0
		.amdhsa_private_segment_fixed_size 0
		.amdhsa_kernarg_size 456
		.amdhsa_user_sgpr_count 6
		.amdhsa_user_sgpr_private_segment_buffer 1
		.amdhsa_user_sgpr_dispatch_ptr 0
		.amdhsa_user_sgpr_queue_ptr 0
		.amdhsa_user_sgpr_kernarg_segment_ptr 1
		.amdhsa_user_sgpr_dispatch_id 0
		.amdhsa_user_sgpr_flat_scratch_init 0
		.amdhsa_user_sgpr_private_segment_size 0
		.amdhsa_uses_dynamic_stack 0
		.amdhsa_system_sgpr_private_segment_wavefront_offset 0
		.amdhsa_system_sgpr_workgroup_id_x 1
		.amdhsa_system_sgpr_workgroup_id_y 1
		.amdhsa_system_sgpr_workgroup_id_z 1
		.amdhsa_system_sgpr_workgroup_info 0
		.amdhsa_system_vgpr_workitem_id 0
		.amdhsa_next_free_vgpr 14
		.amdhsa_next_free_sgpr 31
		.amdhsa_reserve_vcc 1
		.amdhsa_reserve_flat_scratch 0
		.amdhsa_float_round_mode_32 0
		.amdhsa_float_round_mode_16_64 0
		.amdhsa_float_denorm_mode_32 3
		.amdhsa_float_denorm_mode_16_64 3
		.amdhsa_dx10_clamp 1
		.amdhsa_ieee_mode 1
		.amdhsa_fp16_overflow 0
		.amdhsa_exception_fp_ieee_invalid_op 0
		.amdhsa_exception_fp_denorm_src 0
		.amdhsa_exception_fp_ieee_div_zero 0
		.amdhsa_exception_fp_ieee_overflow 0
		.amdhsa_exception_fp_ieee_underflow 0
		.amdhsa_exception_fp_ieee_inexact 0
		.amdhsa_exception_int_div_zero 0
	.end_amdhsa_kernel
	.section	.text._ZN2at6native12_GLOBAL__N_132replication_pad_forward_kernel3dIN3c108BFloat16EEEvN5torch10headeronly6detail27GenericPackedTensorAccessorINS7_14TensorAccessorINS3_8ArrayRefIlEEKT_Lm4ENS6_16DefaultPtrTraitsElEENS_6detail16IndexBoundsCheckILm5ElEESD_Lm5ESE_lEENS8_INS9_ISB_SC_Lm4ESE_lEESI_SC_Lm5ESE_lEEiiiii,"axG",@progbits,_ZN2at6native12_GLOBAL__N_132replication_pad_forward_kernel3dIN3c108BFloat16EEEvN5torch10headeronly6detail27GenericPackedTensorAccessorINS7_14TensorAccessorINS3_8ArrayRefIlEEKT_Lm4ENS6_16DefaultPtrTraitsElEENS_6detail16IndexBoundsCheckILm5ElEESD_Lm5ESE_lEENS8_INS9_ISB_SC_Lm4ESE_lEESI_SC_Lm5ESE_lEEiiiii,comdat
.Lfunc_end50:
	.size	_ZN2at6native12_GLOBAL__N_132replication_pad_forward_kernel3dIN3c108BFloat16EEEvN5torch10headeronly6detail27GenericPackedTensorAccessorINS7_14TensorAccessorINS3_8ArrayRefIlEEKT_Lm4ENS6_16DefaultPtrTraitsElEENS_6detail16IndexBoundsCheckILm5ElEESD_Lm5ESE_lEENS8_INS9_ISB_SC_Lm4ESE_lEESI_SC_Lm5ESE_lEEiiiii, .Lfunc_end50-_ZN2at6native12_GLOBAL__N_132replication_pad_forward_kernel3dIN3c108BFloat16EEEvN5torch10headeronly6detail27GenericPackedTensorAccessorINS7_14TensorAccessorINS3_8ArrayRefIlEEKT_Lm4ENS6_16DefaultPtrTraitsElEENS_6detail16IndexBoundsCheckILm5ElEESD_Lm5ESE_lEENS8_INS9_ISB_SC_Lm4ESE_lEESI_SC_Lm5ESE_lEEiiiii
                                        ; -- End function
	.set _ZN2at6native12_GLOBAL__N_132replication_pad_forward_kernel3dIN3c108BFloat16EEEvN5torch10headeronly6detail27GenericPackedTensorAccessorINS7_14TensorAccessorINS3_8ArrayRefIlEEKT_Lm4ENS6_16DefaultPtrTraitsElEENS_6detail16IndexBoundsCheckILm5ElEESD_Lm5ESE_lEENS8_INS9_ISB_SC_Lm4ESE_lEESI_SC_Lm5ESE_lEEiiiii.num_vgpr, 14
	.set _ZN2at6native12_GLOBAL__N_132replication_pad_forward_kernel3dIN3c108BFloat16EEEvN5torch10headeronly6detail27GenericPackedTensorAccessorINS7_14TensorAccessorINS3_8ArrayRefIlEEKT_Lm4ENS6_16DefaultPtrTraitsElEENS_6detail16IndexBoundsCheckILm5ElEESD_Lm5ESE_lEENS8_INS9_ISB_SC_Lm4ESE_lEESI_SC_Lm5ESE_lEEiiiii.num_agpr, 0
	.set _ZN2at6native12_GLOBAL__N_132replication_pad_forward_kernel3dIN3c108BFloat16EEEvN5torch10headeronly6detail27GenericPackedTensorAccessorINS7_14TensorAccessorINS3_8ArrayRefIlEEKT_Lm4ENS6_16DefaultPtrTraitsElEENS_6detail16IndexBoundsCheckILm5ElEESD_Lm5ESE_lEENS8_INS9_ISB_SC_Lm4ESE_lEESI_SC_Lm5ESE_lEEiiiii.numbered_sgpr, 31
	.set _ZN2at6native12_GLOBAL__N_132replication_pad_forward_kernel3dIN3c108BFloat16EEEvN5torch10headeronly6detail27GenericPackedTensorAccessorINS7_14TensorAccessorINS3_8ArrayRefIlEEKT_Lm4ENS6_16DefaultPtrTraitsElEENS_6detail16IndexBoundsCheckILm5ElEESD_Lm5ESE_lEENS8_INS9_ISB_SC_Lm4ESE_lEESI_SC_Lm5ESE_lEEiiiii.num_named_barrier, 0
	.set _ZN2at6native12_GLOBAL__N_132replication_pad_forward_kernel3dIN3c108BFloat16EEEvN5torch10headeronly6detail27GenericPackedTensorAccessorINS7_14TensorAccessorINS3_8ArrayRefIlEEKT_Lm4ENS6_16DefaultPtrTraitsElEENS_6detail16IndexBoundsCheckILm5ElEESD_Lm5ESE_lEENS8_INS9_ISB_SC_Lm4ESE_lEESI_SC_Lm5ESE_lEEiiiii.private_seg_size, 0
	.set _ZN2at6native12_GLOBAL__N_132replication_pad_forward_kernel3dIN3c108BFloat16EEEvN5torch10headeronly6detail27GenericPackedTensorAccessorINS7_14TensorAccessorINS3_8ArrayRefIlEEKT_Lm4ENS6_16DefaultPtrTraitsElEENS_6detail16IndexBoundsCheckILm5ElEESD_Lm5ESE_lEENS8_INS9_ISB_SC_Lm4ESE_lEESI_SC_Lm5ESE_lEEiiiii.uses_vcc, 1
	.set _ZN2at6native12_GLOBAL__N_132replication_pad_forward_kernel3dIN3c108BFloat16EEEvN5torch10headeronly6detail27GenericPackedTensorAccessorINS7_14TensorAccessorINS3_8ArrayRefIlEEKT_Lm4ENS6_16DefaultPtrTraitsElEENS_6detail16IndexBoundsCheckILm5ElEESD_Lm5ESE_lEENS8_INS9_ISB_SC_Lm4ESE_lEESI_SC_Lm5ESE_lEEiiiii.uses_flat_scratch, 0
	.set _ZN2at6native12_GLOBAL__N_132replication_pad_forward_kernel3dIN3c108BFloat16EEEvN5torch10headeronly6detail27GenericPackedTensorAccessorINS7_14TensorAccessorINS3_8ArrayRefIlEEKT_Lm4ENS6_16DefaultPtrTraitsElEENS_6detail16IndexBoundsCheckILm5ElEESD_Lm5ESE_lEENS8_INS9_ISB_SC_Lm4ESE_lEESI_SC_Lm5ESE_lEEiiiii.has_dyn_sized_stack, 0
	.set _ZN2at6native12_GLOBAL__N_132replication_pad_forward_kernel3dIN3c108BFloat16EEEvN5torch10headeronly6detail27GenericPackedTensorAccessorINS7_14TensorAccessorINS3_8ArrayRefIlEEKT_Lm4ENS6_16DefaultPtrTraitsElEENS_6detail16IndexBoundsCheckILm5ElEESD_Lm5ESE_lEENS8_INS9_ISB_SC_Lm4ESE_lEESI_SC_Lm5ESE_lEEiiiii.has_recursion, 0
	.set _ZN2at6native12_GLOBAL__N_132replication_pad_forward_kernel3dIN3c108BFloat16EEEvN5torch10headeronly6detail27GenericPackedTensorAccessorINS7_14TensorAccessorINS3_8ArrayRefIlEEKT_Lm4ENS6_16DefaultPtrTraitsElEENS_6detail16IndexBoundsCheckILm5ElEESD_Lm5ESE_lEENS8_INS9_ISB_SC_Lm4ESE_lEESI_SC_Lm5ESE_lEEiiiii.has_indirect_call, 0
	.section	.AMDGPU.csdata,"",@progbits
; Kernel info:
; codeLenInByte = 2952
; TotalNumSgprs: 35
; NumVgprs: 14
; ScratchSize: 0
; MemoryBound: 0
; FloatMode: 240
; IeeeMode: 1
; LDSByteSize: 0 bytes/workgroup (compile time only)
; SGPRBlocks: 4
; VGPRBlocks: 3
; NumSGPRsForWavesPerEU: 35
; NumVGPRsForWavesPerEU: 14
; Occupancy: 10
; WaveLimiterHint : 1
; COMPUTE_PGM_RSRC2:SCRATCH_EN: 0
; COMPUTE_PGM_RSRC2:USER_SGPR: 6
; COMPUTE_PGM_RSRC2:TRAP_HANDLER: 0
; COMPUTE_PGM_RSRC2:TGID_X_EN: 1
; COMPUTE_PGM_RSRC2:TGID_Y_EN: 1
; COMPUTE_PGM_RSRC2:TGID_Z_EN: 1
; COMPUTE_PGM_RSRC2:TIDIG_COMP_CNT: 0
	.section	.AMDGPU.gpr_maximums,"",@progbits
	.set amdgpu.max_num_vgpr, 0
	.set amdgpu.max_num_agpr, 0
	.set amdgpu.max_num_sgpr, 0
	.section	.AMDGPU.csdata,"",@progbits
	.type	__hip_cuid_292b7bbeeed391a7,@object ; @__hip_cuid_292b7bbeeed391a7
	.section	.bss,"aw",@nobits
	.globl	__hip_cuid_292b7bbeeed391a7
__hip_cuid_292b7bbeeed391a7:
	.byte	0                               ; 0x0
	.size	__hip_cuid_292b7bbeeed391a7, 1

	.ident	"AMD clang version 22.0.0git (https://github.com/RadeonOpenCompute/llvm-project roc-7.2.4 26084 f58b06dce1f9c15707c5f808fd002e18c2accf7e)"
	.section	".note.GNU-stack","",@progbits
	.addrsig
	.addrsig_sym __hip_cuid_292b7bbeeed391a7
	.amdgpu_metadata
---
amdhsa.kernels:
  - .args:
      - .offset:         0
        .size:           72
        .value_kind:     by_value
      - .offset:         72
        .size:           72
        .value_kind:     by_value
      - .offset:         144
        .size:           4
        .value_kind:     by_value
      - .offset:         148
        .size:           4
        .value_kind:     by_value
      - .offset:         152
        .size:           4
        .value_kind:     by_value
      - .offset:         156
        .size:           4
        .value_kind:     by_value
      - .offset:         160
        .size:           4
        .value_kind:     hidden_block_count_x
      - .offset:         164
        .size:           4
        .value_kind:     hidden_block_count_y
      - .offset:         168
        .size:           4
        .value_kind:     hidden_block_count_z
      - .offset:         172
        .size:           2
        .value_kind:     hidden_group_size_x
      - .offset:         174
        .size:           2
        .value_kind:     hidden_group_size_y
      - .offset:         176
        .size:           2
        .value_kind:     hidden_group_size_z
      - .offset:         178
        .size:           2
        .value_kind:     hidden_remainder_x
      - .offset:         180
        .size:           2
        .value_kind:     hidden_remainder_y
      - .offset:         182
        .size:           2
        .value_kind:     hidden_remainder_z
      - .offset:         200
        .size:           8
        .value_kind:     hidden_global_offset_x
      - .offset:         208
        .size:           8
        .value_kind:     hidden_global_offset_y
      - .offset:         216
        .size:           8
        .value_kind:     hidden_global_offset_z
      - .offset:         224
        .size:           2
        .value_kind:     hidden_grid_dims
    .group_segment_fixed_size: 0
    .kernarg_segment_align: 8
    .kernarg_segment_size: 416
    .language:       OpenCL C
    .language_version:
      - 2
      - 0
    .max_flat_workgroup_size: 1024
    .name:           _ZN2at6native12_GLOBAL__N_131replication_pad_backward_kernelIdEEvN5torch10headeronly6detail27GenericPackedTensorAccessorINS5_14TensorAccessorIN3c108ArrayRefIlEET_Lm3ENS4_16DefaultPtrTraitsElEENS_6detail16IndexBoundsCheckILm4ElEESB_Lm4ESC_lEENS6_INS7_ISA_KSB_Lm3ESC_lEESG_SI_Lm4ESC_lEEiiii
    .private_segment_fixed_size: 0
    .sgpr_count:     34
    .sgpr_spill_count: 0
    .symbol:         _ZN2at6native12_GLOBAL__N_131replication_pad_backward_kernelIdEEvN5torch10headeronly6detail27GenericPackedTensorAccessorINS5_14TensorAccessorIN3c108ArrayRefIlEET_Lm3ENS4_16DefaultPtrTraitsElEENS_6detail16IndexBoundsCheckILm4ElEESB_Lm4ESC_lEENS6_INS7_ISA_KSB_Lm3ESC_lEESG_SI_Lm4ESC_lEEiiii.kd
    .uniform_work_group_size: 1
    .uses_dynamic_stack: false
    .vgpr_count:     13
    .vgpr_spill_count: 0
    .wavefront_size: 64
  - .args:
      - .offset:         0
        .size:           72
        .value_kind:     by_value
      - .offset:         72
        .size:           72
        .value_kind:     by_value
      - .offset:         144
        .size:           4
        .value_kind:     by_value
      - .offset:         148
        .size:           4
        .value_kind:     by_value
      - .offset:         152
        .size:           4
        .value_kind:     by_value
      - .offset:         156
        .size:           4
        .value_kind:     by_value
      - .offset:         160
        .size:           4
        .value_kind:     hidden_block_count_x
      - .offset:         164
        .size:           4
        .value_kind:     hidden_block_count_y
      - .offset:         168
        .size:           4
        .value_kind:     hidden_block_count_z
      - .offset:         172
        .size:           2
        .value_kind:     hidden_group_size_x
      - .offset:         174
        .size:           2
        .value_kind:     hidden_group_size_y
      - .offset:         176
        .size:           2
        .value_kind:     hidden_group_size_z
      - .offset:         178
        .size:           2
        .value_kind:     hidden_remainder_x
      - .offset:         180
        .size:           2
        .value_kind:     hidden_remainder_y
      - .offset:         182
        .size:           2
        .value_kind:     hidden_remainder_z
      - .offset:         200
        .size:           8
        .value_kind:     hidden_global_offset_x
      - .offset:         208
        .size:           8
        .value_kind:     hidden_global_offset_y
      - .offset:         216
        .size:           8
        .value_kind:     hidden_global_offset_z
      - .offset:         224
        .size:           2
        .value_kind:     hidden_grid_dims
    .group_segment_fixed_size: 0
    .kernarg_segment_align: 8
    .kernarg_segment_size: 416
    .language:       OpenCL C
    .language_version:
      - 2
      - 0
    .max_flat_workgroup_size: 1024
    .name:           _ZN2at6native12_GLOBAL__N_131replication_pad_backward_kernelIfEEvN5torch10headeronly6detail27GenericPackedTensorAccessorINS5_14TensorAccessorIN3c108ArrayRefIlEET_Lm3ENS4_16DefaultPtrTraitsElEENS_6detail16IndexBoundsCheckILm4ElEESB_Lm4ESC_lEENS6_INS7_ISA_KSB_Lm3ESC_lEESG_SI_Lm4ESC_lEEiiii
    .private_segment_fixed_size: 0
    .sgpr_count:     34
    .sgpr_spill_count: 0
    .symbol:         _ZN2at6native12_GLOBAL__N_131replication_pad_backward_kernelIfEEvN5torch10headeronly6detail27GenericPackedTensorAccessorINS5_14TensorAccessorIN3c108ArrayRefIlEET_Lm3ENS4_16DefaultPtrTraitsElEENS_6detail16IndexBoundsCheckILm4ElEESB_Lm4ESC_lEENS6_INS7_ISA_KSB_Lm3ESC_lEESG_SI_Lm4ESC_lEEiiii.kd
    .uniform_work_group_size: 1
    .uses_dynamic_stack: false
    .vgpr_count:     13
    .vgpr_spill_count: 0
    .wavefront_size: 64
  - .args:
      - .offset:         0
        .size:           72
        .value_kind:     by_value
      - .offset:         72
        .size:           72
        .value_kind:     by_value
      - .offset:         144
        .size:           4
        .value_kind:     by_value
      - .offset:         148
        .size:           4
        .value_kind:     by_value
      - .offset:         152
        .size:           4
        .value_kind:     by_value
      - .offset:         156
        .size:           4
        .value_kind:     by_value
      - .offset:         160
        .size:           4
        .value_kind:     hidden_block_count_x
      - .offset:         164
        .size:           4
        .value_kind:     hidden_block_count_y
      - .offset:         168
        .size:           4
        .value_kind:     hidden_block_count_z
      - .offset:         172
        .size:           2
        .value_kind:     hidden_group_size_x
      - .offset:         174
        .size:           2
        .value_kind:     hidden_group_size_y
      - .offset:         176
        .size:           2
        .value_kind:     hidden_group_size_z
      - .offset:         178
        .size:           2
        .value_kind:     hidden_remainder_x
      - .offset:         180
        .size:           2
        .value_kind:     hidden_remainder_y
      - .offset:         182
        .size:           2
        .value_kind:     hidden_remainder_z
      - .offset:         200
        .size:           8
        .value_kind:     hidden_global_offset_x
      - .offset:         208
        .size:           8
        .value_kind:     hidden_global_offset_y
      - .offset:         216
        .size:           8
        .value_kind:     hidden_global_offset_z
      - .offset:         224
        .size:           2
        .value_kind:     hidden_grid_dims
    .group_segment_fixed_size: 0
    .kernarg_segment_align: 8
    .kernarg_segment_size: 416
    .language:       OpenCL C
    .language_version:
      - 2
      - 0
    .max_flat_workgroup_size: 1024
    .name:           _ZN2at6native12_GLOBAL__N_131replication_pad_backward_kernelIN3c107complexIdEEEEvN5torch10headeronly6detail27GenericPackedTensorAccessorINS8_14TensorAccessorINS3_8ArrayRefIlEET_Lm3ENS7_16DefaultPtrTraitsElEENS_6detail16IndexBoundsCheckILm4ElEESD_Lm4ESE_lEENS9_INSA_ISC_KSD_Lm3ESE_lEESI_SK_Lm4ESE_lEEiiii
    .private_segment_fixed_size: 0
    .sgpr_count:     34
    .sgpr_spill_count: 0
    .symbol:         _ZN2at6native12_GLOBAL__N_131replication_pad_backward_kernelIN3c107complexIdEEEEvN5torch10headeronly6detail27GenericPackedTensorAccessorINS8_14TensorAccessorINS3_8ArrayRefIlEET_Lm3ENS7_16DefaultPtrTraitsElEENS_6detail16IndexBoundsCheckILm4ElEESD_Lm4ESE_lEENS9_INSA_ISC_KSD_Lm3ESE_lEESI_SK_Lm4ESE_lEEiiii.kd
    .uniform_work_group_size: 1
    .uses_dynamic_stack: false
    .vgpr_count:     13
    .vgpr_spill_count: 0
    .wavefront_size: 64
  - .args:
      - .offset:         0
        .size:           72
        .value_kind:     by_value
      - .offset:         72
        .size:           72
        .value_kind:     by_value
      - .offset:         144
        .size:           4
        .value_kind:     by_value
      - .offset:         148
        .size:           4
        .value_kind:     by_value
      - .offset:         152
        .size:           4
        .value_kind:     by_value
      - .offset:         156
        .size:           4
        .value_kind:     by_value
      - .offset:         160
        .size:           4
        .value_kind:     hidden_block_count_x
      - .offset:         164
        .size:           4
        .value_kind:     hidden_block_count_y
      - .offset:         168
        .size:           4
        .value_kind:     hidden_block_count_z
      - .offset:         172
        .size:           2
        .value_kind:     hidden_group_size_x
      - .offset:         174
        .size:           2
        .value_kind:     hidden_group_size_y
      - .offset:         176
        .size:           2
        .value_kind:     hidden_group_size_z
      - .offset:         178
        .size:           2
        .value_kind:     hidden_remainder_x
      - .offset:         180
        .size:           2
        .value_kind:     hidden_remainder_y
      - .offset:         182
        .size:           2
        .value_kind:     hidden_remainder_z
      - .offset:         200
        .size:           8
        .value_kind:     hidden_global_offset_x
      - .offset:         208
        .size:           8
        .value_kind:     hidden_global_offset_y
      - .offset:         216
        .size:           8
        .value_kind:     hidden_global_offset_z
      - .offset:         224
        .size:           2
        .value_kind:     hidden_grid_dims
    .group_segment_fixed_size: 0
    .kernarg_segment_align: 8
    .kernarg_segment_size: 416
    .language:       OpenCL C
    .language_version:
      - 2
      - 0
    .max_flat_workgroup_size: 1024
    .name:           _ZN2at6native12_GLOBAL__N_131replication_pad_backward_kernelIN3c107complexIfEEEEvN5torch10headeronly6detail27GenericPackedTensorAccessorINS8_14TensorAccessorINS3_8ArrayRefIlEET_Lm3ENS7_16DefaultPtrTraitsElEENS_6detail16IndexBoundsCheckILm4ElEESD_Lm4ESE_lEENS9_INSA_ISC_KSD_Lm3ESE_lEESI_SK_Lm4ESE_lEEiiii
    .private_segment_fixed_size: 0
    .sgpr_count:     34
    .sgpr_spill_count: 0
    .symbol:         _ZN2at6native12_GLOBAL__N_131replication_pad_backward_kernelIN3c107complexIfEEEEvN5torch10headeronly6detail27GenericPackedTensorAccessorINS8_14TensorAccessorINS3_8ArrayRefIlEET_Lm3ENS7_16DefaultPtrTraitsElEENS_6detail16IndexBoundsCheckILm4ElEESD_Lm4ESE_lEENS9_INSA_ISC_KSD_Lm3ESE_lEESI_SK_Lm4ESE_lEEiiii.kd
    .uniform_work_group_size: 1
    .uses_dynamic_stack: false
    .vgpr_count:     13
    .vgpr_spill_count: 0
    .wavefront_size: 64
  - .args:
      - .offset:         0
        .size:           72
        .value_kind:     by_value
      - .offset:         72
        .size:           72
        .value_kind:     by_value
      - .offset:         144
        .size:           4
        .value_kind:     by_value
      - .offset:         148
        .size:           4
        .value_kind:     by_value
      - .offset:         152
        .size:           4
        .value_kind:     by_value
      - .offset:         156
        .size:           4
        .value_kind:     by_value
      - .offset:         160
        .size:           4
        .value_kind:     hidden_block_count_x
      - .offset:         164
        .size:           4
        .value_kind:     hidden_block_count_y
      - .offset:         168
        .size:           4
        .value_kind:     hidden_block_count_z
      - .offset:         172
        .size:           2
        .value_kind:     hidden_group_size_x
      - .offset:         174
        .size:           2
        .value_kind:     hidden_group_size_y
      - .offset:         176
        .size:           2
        .value_kind:     hidden_group_size_z
      - .offset:         178
        .size:           2
        .value_kind:     hidden_remainder_x
      - .offset:         180
        .size:           2
        .value_kind:     hidden_remainder_y
      - .offset:         182
        .size:           2
        .value_kind:     hidden_remainder_z
      - .offset:         200
        .size:           8
        .value_kind:     hidden_global_offset_x
      - .offset:         208
        .size:           8
        .value_kind:     hidden_global_offset_y
      - .offset:         216
        .size:           8
        .value_kind:     hidden_global_offset_z
      - .offset:         224
        .size:           2
        .value_kind:     hidden_grid_dims
    .group_segment_fixed_size: 0
    .kernarg_segment_align: 8
    .kernarg_segment_size: 416
    .language:       OpenCL C
    .language_version:
      - 2
      - 0
    .max_flat_workgroup_size: 1024
    .name:           _ZN2at6native12_GLOBAL__N_131replication_pad_backward_kernelIN3c104HalfEEEvN5torch10headeronly6detail27GenericPackedTensorAccessorINS7_14TensorAccessorINS3_8ArrayRefIlEET_Lm3ENS6_16DefaultPtrTraitsElEENS_6detail16IndexBoundsCheckILm4ElEESC_Lm4ESD_lEENS8_INS9_ISB_KSC_Lm3ESD_lEESH_SJ_Lm4ESD_lEEiiii
    .private_segment_fixed_size: 0
    .sgpr_count:     34
    .sgpr_spill_count: 0
    .symbol:         _ZN2at6native12_GLOBAL__N_131replication_pad_backward_kernelIN3c104HalfEEEvN5torch10headeronly6detail27GenericPackedTensorAccessorINS7_14TensorAccessorINS3_8ArrayRefIlEET_Lm3ENS6_16DefaultPtrTraitsElEENS_6detail16IndexBoundsCheckILm4ElEESC_Lm4ESD_lEENS8_INS9_ISB_KSC_Lm3ESD_lEESH_SJ_Lm4ESD_lEEiiii.kd
    .uniform_work_group_size: 1
    .uses_dynamic_stack: false
    .vgpr_count:     13
    .vgpr_spill_count: 0
    .wavefront_size: 64
  - .args:
      - .offset:         0
        .size:           72
        .value_kind:     by_value
      - .offset:         72
        .size:           72
        .value_kind:     by_value
      - .offset:         144
        .size:           4
        .value_kind:     by_value
      - .offset:         148
        .size:           4
        .value_kind:     by_value
      - .offset:         152
        .size:           4
        .value_kind:     by_value
      - .offset:         156
        .size:           4
        .value_kind:     by_value
      - .offset:         160
        .size:           4
        .value_kind:     hidden_block_count_x
      - .offset:         164
        .size:           4
        .value_kind:     hidden_block_count_y
      - .offset:         168
        .size:           4
        .value_kind:     hidden_block_count_z
      - .offset:         172
        .size:           2
        .value_kind:     hidden_group_size_x
      - .offset:         174
        .size:           2
        .value_kind:     hidden_group_size_y
      - .offset:         176
        .size:           2
        .value_kind:     hidden_group_size_z
      - .offset:         178
        .size:           2
        .value_kind:     hidden_remainder_x
      - .offset:         180
        .size:           2
        .value_kind:     hidden_remainder_y
      - .offset:         182
        .size:           2
        .value_kind:     hidden_remainder_z
      - .offset:         200
        .size:           8
        .value_kind:     hidden_global_offset_x
      - .offset:         208
        .size:           8
        .value_kind:     hidden_global_offset_y
      - .offset:         216
        .size:           8
        .value_kind:     hidden_global_offset_z
      - .offset:         224
        .size:           2
        .value_kind:     hidden_grid_dims
    .group_segment_fixed_size: 0
    .kernarg_segment_align: 8
    .kernarg_segment_size: 416
    .language:       OpenCL C
    .language_version:
      - 2
      - 0
    .max_flat_workgroup_size: 1024
    .name:           _ZN2at6native12_GLOBAL__N_131replication_pad_backward_kernelIN3c108BFloat16EEEvN5torch10headeronly6detail27GenericPackedTensorAccessorINS7_14TensorAccessorINS3_8ArrayRefIlEET_Lm3ENS6_16DefaultPtrTraitsElEENS_6detail16IndexBoundsCheckILm4ElEESC_Lm4ESD_lEENS8_INS9_ISB_KSC_Lm3ESD_lEESH_SJ_Lm4ESD_lEEiiii
    .private_segment_fixed_size: 0
    .sgpr_count:     34
    .sgpr_spill_count: 0
    .symbol:         _ZN2at6native12_GLOBAL__N_131replication_pad_backward_kernelIN3c108BFloat16EEEvN5torch10headeronly6detail27GenericPackedTensorAccessorINS7_14TensorAccessorINS3_8ArrayRefIlEET_Lm3ENS6_16DefaultPtrTraitsElEENS_6detail16IndexBoundsCheckILm4ElEESC_Lm4ESD_lEENS8_INS9_ISB_KSC_Lm3ESD_lEESH_SJ_Lm4ESD_lEEiiii.kd
    .uniform_work_group_size: 1
    .uses_dynamic_stack: false
    .vgpr_count:     13
    .vgpr_spill_count: 0
    .wavefront_size: 64
  - .args:
      - .offset:         0
        .size:           88
        .value_kind:     by_value
      - .offset:         88
        .size:           88
        .value_kind:     by_value
      - .offset:         176
        .size:           4
        .value_kind:     by_value
      - .offset:         180
        .size:           4
        .value_kind:     by_value
      - .offset:         184
        .size:           4
        .value_kind:     by_value
      - .offset:         188
        .size:           4
        .value_kind:     by_value
      - .offset:         192
        .size:           4
        .value_kind:     by_value
      - .offset:         200
        .size:           4
        .value_kind:     hidden_block_count_x
      - .offset:         204
        .size:           4
        .value_kind:     hidden_block_count_y
      - .offset:         208
        .size:           4
        .value_kind:     hidden_block_count_z
      - .offset:         212
        .size:           2
        .value_kind:     hidden_group_size_x
      - .offset:         214
        .size:           2
        .value_kind:     hidden_group_size_y
      - .offset:         216
        .size:           2
        .value_kind:     hidden_group_size_z
      - .offset:         218
        .size:           2
        .value_kind:     hidden_remainder_x
      - .offset:         220
        .size:           2
        .value_kind:     hidden_remainder_y
      - .offset:         222
        .size:           2
        .value_kind:     hidden_remainder_z
      - .offset:         240
        .size:           8
        .value_kind:     hidden_global_offset_x
      - .offset:         248
        .size:           8
        .value_kind:     hidden_global_offset_y
      - .offset:         256
        .size:           8
        .value_kind:     hidden_global_offset_z
      - .offset:         264
        .size:           2
        .value_kind:     hidden_grid_dims
    .group_segment_fixed_size: 0
    .kernarg_segment_align: 8
    .kernarg_segment_size: 456
    .language:       OpenCL C
    .language_version:
      - 2
      - 0
    .max_flat_workgroup_size: 1024
    .name:           _ZN2at6native12_GLOBAL__N_131replication_pad_backward_kernelIdEEvN5torch10headeronly6detail27GenericPackedTensorAccessorINS5_14TensorAccessorIN3c108ArrayRefIlEET_Lm4ENS4_16DefaultPtrTraitsElEENS_6detail16IndexBoundsCheckILm5ElEESB_Lm5ESC_lEENS6_INS7_ISA_KSB_Lm4ESC_lEESG_SI_Lm5ESC_lEEiiiii
    .private_segment_fixed_size: 0
    .sgpr_count:     42
    .sgpr_spill_count: 0
    .symbol:         _ZN2at6native12_GLOBAL__N_131replication_pad_backward_kernelIdEEvN5torch10headeronly6detail27GenericPackedTensorAccessorINS5_14TensorAccessorIN3c108ArrayRefIlEET_Lm4ENS4_16DefaultPtrTraitsElEENS_6detail16IndexBoundsCheckILm5ElEESB_Lm5ESC_lEENS6_INS7_ISA_KSB_Lm4ESC_lEESG_SI_Lm5ESC_lEEiiiii.kd
    .uniform_work_group_size: 1
    .uses_dynamic_stack: false
    .vgpr_count:     14
    .vgpr_spill_count: 0
    .wavefront_size: 64
  - .args:
      - .offset:         0
        .size:           88
        .value_kind:     by_value
      - .offset:         88
        .size:           88
        .value_kind:     by_value
      - .offset:         176
        .size:           4
        .value_kind:     by_value
      - .offset:         180
        .size:           4
        .value_kind:     by_value
      - .offset:         184
        .size:           4
        .value_kind:     by_value
      - .offset:         188
        .size:           4
        .value_kind:     by_value
      - .offset:         192
        .size:           4
        .value_kind:     by_value
      - .offset:         200
        .size:           4
        .value_kind:     hidden_block_count_x
      - .offset:         204
        .size:           4
        .value_kind:     hidden_block_count_y
      - .offset:         208
        .size:           4
        .value_kind:     hidden_block_count_z
      - .offset:         212
        .size:           2
        .value_kind:     hidden_group_size_x
      - .offset:         214
        .size:           2
        .value_kind:     hidden_group_size_y
      - .offset:         216
        .size:           2
        .value_kind:     hidden_group_size_z
      - .offset:         218
        .size:           2
        .value_kind:     hidden_remainder_x
      - .offset:         220
        .size:           2
        .value_kind:     hidden_remainder_y
      - .offset:         222
        .size:           2
        .value_kind:     hidden_remainder_z
      - .offset:         240
        .size:           8
        .value_kind:     hidden_global_offset_x
      - .offset:         248
        .size:           8
        .value_kind:     hidden_global_offset_y
      - .offset:         256
        .size:           8
        .value_kind:     hidden_global_offset_z
      - .offset:         264
        .size:           2
        .value_kind:     hidden_grid_dims
    .group_segment_fixed_size: 0
    .kernarg_segment_align: 8
    .kernarg_segment_size: 456
    .language:       OpenCL C
    .language_version:
      - 2
      - 0
    .max_flat_workgroup_size: 1024
    .name:           _ZN2at6native12_GLOBAL__N_131replication_pad_backward_kernelIfEEvN5torch10headeronly6detail27GenericPackedTensorAccessorINS5_14TensorAccessorIN3c108ArrayRefIlEET_Lm4ENS4_16DefaultPtrTraitsElEENS_6detail16IndexBoundsCheckILm5ElEESB_Lm5ESC_lEENS6_INS7_ISA_KSB_Lm4ESC_lEESG_SI_Lm5ESC_lEEiiiii
    .private_segment_fixed_size: 0
    .sgpr_count:     42
    .sgpr_spill_count: 0
    .symbol:         _ZN2at6native12_GLOBAL__N_131replication_pad_backward_kernelIfEEvN5torch10headeronly6detail27GenericPackedTensorAccessorINS5_14TensorAccessorIN3c108ArrayRefIlEET_Lm4ENS4_16DefaultPtrTraitsElEENS_6detail16IndexBoundsCheckILm5ElEESB_Lm5ESC_lEENS6_INS7_ISA_KSB_Lm4ESC_lEESG_SI_Lm5ESC_lEEiiiii.kd
    .uniform_work_group_size: 1
    .uses_dynamic_stack: false
    .vgpr_count:     14
    .vgpr_spill_count: 0
    .wavefront_size: 64
  - .args:
      - .offset:         0
        .size:           88
        .value_kind:     by_value
      - .offset:         88
        .size:           88
        .value_kind:     by_value
      - .offset:         176
        .size:           4
        .value_kind:     by_value
      - .offset:         180
        .size:           4
        .value_kind:     by_value
      - .offset:         184
        .size:           4
        .value_kind:     by_value
      - .offset:         188
        .size:           4
        .value_kind:     by_value
      - .offset:         192
        .size:           4
        .value_kind:     by_value
      - .offset:         200
        .size:           4
        .value_kind:     hidden_block_count_x
      - .offset:         204
        .size:           4
        .value_kind:     hidden_block_count_y
      - .offset:         208
        .size:           4
        .value_kind:     hidden_block_count_z
      - .offset:         212
        .size:           2
        .value_kind:     hidden_group_size_x
      - .offset:         214
        .size:           2
        .value_kind:     hidden_group_size_y
      - .offset:         216
        .size:           2
        .value_kind:     hidden_group_size_z
      - .offset:         218
        .size:           2
        .value_kind:     hidden_remainder_x
      - .offset:         220
        .size:           2
        .value_kind:     hidden_remainder_y
      - .offset:         222
        .size:           2
        .value_kind:     hidden_remainder_z
      - .offset:         240
        .size:           8
        .value_kind:     hidden_global_offset_x
      - .offset:         248
        .size:           8
        .value_kind:     hidden_global_offset_y
      - .offset:         256
        .size:           8
        .value_kind:     hidden_global_offset_z
      - .offset:         264
        .size:           2
        .value_kind:     hidden_grid_dims
    .group_segment_fixed_size: 0
    .kernarg_segment_align: 8
    .kernarg_segment_size: 456
    .language:       OpenCL C
    .language_version:
      - 2
      - 0
    .max_flat_workgroup_size: 1024
    .name:           _ZN2at6native12_GLOBAL__N_131replication_pad_backward_kernelIN3c107complexIdEEEEvN5torch10headeronly6detail27GenericPackedTensorAccessorINS8_14TensorAccessorINS3_8ArrayRefIlEET_Lm4ENS7_16DefaultPtrTraitsElEENS_6detail16IndexBoundsCheckILm5ElEESD_Lm5ESE_lEENS9_INSA_ISC_KSD_Lm4ESE_lEESI_SK_Lm5ESE_lEEiiiii
    .private_segment_fixed_size: 0
    .sgpr_count:     42
    .sgpr_spill_count: 0
    .symbol:         _ZN2at6native12_GLOBAL__N_131replication_pad_backward_kernelIN3c107complexIdEEEEvN5torch10headeronly6detail27GenericPackedTensorAccessorINS8_14TensorAccessorINS3_8ArrayRefIlEET_Lm4ENS7_16DefaultPtrTraitsElEENS_6detail16IndexBoundsCheckILm5ElEESD_Lm5ESE_lEENS9_INSA_ISC_KSD_Lm4ESE_lEESI_SK_Lm5ESE_lEEiiiii.kd
    .uniform_work_group_size: 1
    .uses_dynamic_stack: false
    .vgpr_count:     14
    .vgpr_spill_count: 0
    .wavefront_size: 64
  - .args:
      - .offset:         0
        .size:           88
        .value_kind:     by_value
      - .offset:         88
        .size:           88
        .value_kind:     by_value
      - .offset:         176
        .size:           4
        .value_kind:     by_value
      - .offset:         180
        .size:           4
        .value_kind:     by_value
      - .offset:         184
        .size:           4
        .value_kind:     by_value
      - .offset:         188
        .size:           4
        .value_kind:     by_value
      - .offset:         192
        .size:           4
        .value_kind:     by_value
      - .offset:         200
        .size:           4
        .value_kind:     hidden_block_count_x
      - .offset:         204
        .size:           4
        .value_kind:     hidden_block_count_y
      - .offset:         208
        .size:           4
        .value_kind:     hidden_block_count_z
      - .offset:         212
        .size:           2
        .value_kind:     hidden_group_size_x
      - .offset:         214
        .size:           2
        .value_kind:     hidden_group_size_y
      - .offset:         216
        .size:           2
        .value_kind:     hidden_group_size_z
      - .offset:         218
        .size:           2
        .value_kind:     hidden_remainder_x
      - .offset:         220
        .size:           2
        .value_kind:     hidden_remainder_y
      - .offset:         222
        .size:           2
        .value_kind:     hidden_remainder_z
      - .offset:         240
        .size:           8
        .value_kind:     hidden_global_offset_x
      - .offset:         248
        .size:           8
        .value_kind:     hidden_global_offset_y
      - .offset:         256
        .size:           8
        .value_kind:     hidden_global_offset_z
      - .offset:         264
        .size:           2
        .value_kind:     hidden_grid_dims
    .group_segment_fixed_size: 0
    .kernarg_segment_align: 8
    .kernarg_segment_size: 456
    .language:       OpenCL C
    .language_version:
      - 2
      - 0
    .max_flat_workgroup_size: 1024
    .name:           _ZN2at6native12_GLOBAL__N_131replication_pad_backward_kernelIN3c107complexIfEEEEvN5torch10headeronly6detail27GenericPackedTensorAccessorINS8_14TensorAccessorINS3_8ArrayRefIlEET_Lm4ENS7_16DefaultPtrTraitsElEENS_6detail16IndexBoundsCheckILm5ElEESD_Lm5ESE_lEENS9_INSA_ISC_KSD_Lm4ESE_lEESI_SK_Lm5ESE_lEEiiiii
    .private_segment_fixed_size: 0
    .sgpr_count:     42
    .sgpr_spill_count: 0
    .symbol:         _ZN2at6native12_GLOBAL__N_131replication_pad_backward_kernelIN3c107complexIfEEEEvN5torch10headeronly6detail27GenericPackedTensorAccessorINS8_14TensorAccessorINS3_8ArrayRefIlEET_Lm4ENS7_16DefaultPtrTraitsElEENS_6detail16IndexBoundsCheckILm5ElEESD_Lm5ESE_lEENS9_INSA_ISC_KSD_Lm4ESE_lEESI_SK_Lm5ESE_lEEiiiii.kd
    .uniform_work_group_size: 1
    .uses_dynamic_stack: false
    .vgpr_count:     14
    .vgpr_spill_count: 0
    .wavefront_size: 64
  - .args:
      - .offset:         0
        .size:           88
        .value_kind:     by_value
      - .offset:         88
        .size:           88
        .value_kind:     by_value
      - .offset:         176
        .size:           4
        .value_kind:     by_value
      - .offset:         180
        .size:           4
        .value_kind:     by_value
      - .offset:         184
        .size:           4
        .value_kind:     by_value
      - .offset:         188
        .size:           4
        .value_kind:     by_value
      - .offset:         192
        .size:           4
        .value_kind:     by_value
      - .offset:         200
        .size:           4
        .value_kind:     hidden_block_count_x
      - .offset:         204
        .size:           4
        .value_kind:     hidden_block_count_y
      - .offset:         208
        .size:           4
        .value_kind:     hidden_block_count_z
      - .offset:         212
        .size:           2
        .value_kind:     hidden_group_size_x
      - .offset:         214
        .size:           2
        .value_kind:     hidden_group_size_y
      - .offset:         216
        .size:           2
        .value_kind:     hidden_group_size_z
      - .offset:         218
        .size:           2
        .value_kind:     hidden_remainder_x
      - .offset:         220
        .size:           2
        .value_kind:     hidden_remainder_y
      - .offset:         222
        .size:           2
        .value_kind:     hidden_remainder_z
      - .offset:         240
        .size:           8
        .value_kind:     hidden_global_offset_x
      - .offset:         248
        .size:           8
        .value_kind:     hidden_global_offset_y
      - .offset:         256
        .size:           8
        .value_kind:     hidden_global_offset_z
      - .offset:         264
        .size:           2
        .value_kind:     hidden_grid_dims
    .group_segment_fixed_size: 0
    .kernarg_segment_align: 8
    .kernarg_segment_size: 456
    .language:       OpenCL C
    .language_version:
      - 2
      - 0
    .max_flat_workgroup_size: 1024
    .name:           _ZN2at6native12_GLOBAL__N_131replication_pad_backward_kernelIN3c104HalfEEEvN5torch10headeronly6detail27GenericPackedTensorAccessorINS7_14TensorAccessorINS3_8ArrayRefIlEET_Lm4ENS6_16DefaultPtrTraitsElEENS_6detail16IndexBoundsCheckILm5ElEESC_Lm5ESD_lEENS8_INS9_ISB_KSC_Lm4ESD_lEESH_SJ_Lm5ESD_lEEiiiii
    .private_segment_fixed_size: 0
    .sgpr_count:     42
    .sgpr_spill_count: 0
    .symbol:         _ZN2at6native12_GLOBAL__N_131replication_pad_backward_kernelIN3c104HalfEEEvN5torch10headeronly6detail27GenericPackedTensorAccessorINS7_14TensorAccessorINS3_8ArrayRefIlEET_Lm4ENS6_16DefaultPtrTraitsElEENS_6detail16IndexBoundsCheckILm5ElEESC_Lm5ESD_lEENS8_INS9_ISB_KSC_Lm4ESD_lEESH_SJ_Lm5ESD_lEEiiiii.kd
    .uniform_work_group_size: 1
    .uses_dynamic_stack: false
    .vgpr_count:     14
    .vgpr_spill_count: 0
    .wavefront_size: 64
  - .args:
      - .offset:         0
        .size:           88
        .value_kind:     by_value
      - .offset:         88
        .size:           88
        .value_kind:     by_value
      - .offset:         176
        .size:           4
        .value_kind:     by_value
      - .offset:         180
        .size:           4
        .value_kind:     by_value
      - .offset:         184
        .size:           4
        .value_kind:     by_value
      - .offset:         188
        .size:           4
        .value_kind:     by_value
      - .offset:         192
        .size:           4
        .value_kind:     by_value
      - .offset:         200
        .size:           4
        .value_kind:     hidden_block_count_x
      - .offset:         204
        .size:           4
        .value_kind:     hidden_block_count_y
      - .offset:         208
        .size:           4
        .value_kind:     hidden_block_count_z
      - .offset:         212
        .size:           2
        .value_kind:     hidden_group_size_x
      - .offset:         214
        .size:           2
        .value_kind:     hidden_group_size_y
      - .offset:         216
        .size:           2
        .value_kind:     hidden_group_size_z
      - .offset:         218
        .size:           2
        .value_kind:     hidden_remainder_x
      - .offset:         220
        .size:           2
        .value_kind:     hidden_remainder_y
      - .offset:         222
        .size:           2
        .value_kind:     hidden_remainder_z
      - .offset:         240
        .size:           8
        .value_kind:     hidden_global_offset_x
      - .offset:         248
        .size:           8
        .value_kind:     hidden_global_offset_y
      - .offset:         256
        .size:           8
        .value_kind:     hidden_global_offset_z
      - .offset:         264
        .size:           2
        .value_kind:     hidden_grid_dims
    .group_segment_fixed_size: 0
    .kernarg_segment_align: 8
    .kernarg_segment_size: 456
    .language:       OpenCL C
    .language_version:
      - 2
      - 0
    .max_flat_workgroup_size: 1024
    .name:           _ZN2at6native12_GLOBAL__N_131replication_pad_backward_kernelIN3c108BFloat16EEEvN5torch10headeronly6detail27GenericPackedTensorAccessorINS7_14TensorAccessorINS3_8ArrayRefIlEET_Lm4ENS6_16DefaultPtrTraitsElEENS_6detail16IndexBoundsCheckILm5ElEESC_Lm5ESD_lEENS8_INS9_ISB_KSC_Lm4ESD_lEESH_SJ_Lm5ESD_lEEiiiii
    .private_segment_fixed_size: 0
    .sgpr_count:     42
    .sgpr_spill_count: 0
    .symbol:         _ZN2at6native12_GLOBAL__N_131replication_pad_backward_kernelIN3c108BFloat16EEEvN5torch10headeronly6detail27GenericPackedTensorAccessorINS7_14TensorAccessorINS3_8ArrayRefIlEET_Lm4ENS6_16DefaultPtrTraitsElEENS_6detail16IndexBoundsCheckILm5ElEESC_Lm5ESD_lEENS8_INS9_ISB_KSC_Lm4ESD_lEESH_SJ_Lm5ESD_lEEiiiii.kd
    .uniform_work_group_size: 1
    .uses_dynamic_stack: false
    .vgpr_count:     14
    .vgpr_spill_count: 0
    .wavefront_size: 64
  - .args:
      - .offset:         0
        .size:           56
        .value_kind:     by_value
      - .offset:         56
        .size:           56
        .value_kind:     by_value
      - .offset:         112
        .size:           4
        .value_kind:     by_value
      - .offset:         116
        .size:           4
        .value_kind:     by_value
      - .offset:         120
        .size:           4
        .value_kind:     by_value
      - .offset:         128
        .size:           4
        .value_kind:     hidden_block_count_x
      - .offset:         132
        .size:           4
        .value_kind:     hidden_block_count_y
      - .offset:         136
        .size:           4
        .value_kind:     hidden_block_count_z
      - .offset:         140
        .size:           2
        .value_kind:     hidden_group_size_x
      - .offset:         142
        .size:           2
        .value_kind:     hidden_group_size_y
      - .offset:         144
        .size:           2
        .value_kind:     hidden_group_size_z
      - .offset:         146
        .size:           2
        .value_kind:     hidden_remainder_x
      - .offset:         148
        .size:           2
        .value_kind:     hidden_remainder_y
      - .offset:         150
        .size:           2
        .value_kind:     hidden_remainder_z
      - .offset:         168
        .size:           8
        .value_kind:     hidden_global_offset_x
      - .offset:         176
        .size:           8
        .value_kind:     hidden_global_offset_y
      - .offset:         184
        .size:           8
        .value_kind:     hidden_global_offset_z
      - .offset:         192
        .size:           2
        .value_kind:     hidden_grid_dims
    .group_segment_fixed_size: 0
    .kernarg_segment_align: 8
    .kernarg_segment_size: 384
    .language:       OpenCL C
    .language_version:
      - 2
      - 0
    .max_flat_workgroup_size: 1024
    .name:           _ZN2at6native12_GLOBAL__N_132replication_pad_forward_kernel1dIhEEvN5torch10headeronly6detail27GenericPackedTensorAccessorINS5_14TensorAccessorIN3c108ArrayRefIlEEKT_Lm2ENS4_16DefaultPtrTraitsElEENS_6detail16IndexBoundsCheckILm3ElEESC_Lm3ESD_lEENS6_INS7_ISA_SB_Lm2ESD_lEESH_SB_Lm3ESD_lEEiii
    .private_segment_fixed_size: 0
    .sgpr_count:     24
    .sgpr_spill_count: 0
    .symbol:         _ZN2at6native12_GLOBAL__N_132replication_pad_forward_kernel1dIhEEvN5torch10headeronly6detail27GenericPackedTensorAccessorINS5_14TensorAccessorIN3c108ArrayRefIlEEKT_Lm2ENS4_16DefaultPtrTraitsElEENS_6detail16IndexBoundsCheckILm3ElEESC_Lm3ESD_lEENS6_INS7_ISA_SB_Lm2ESD_lEESH_SB_Lm3ESD_lEEiii.kd
    .uniform_work_group_size: 1
    .uses_dynamic_stack: false
    .vgpr_count:     9
    .vgpr_spill_count: 0
    .wavefront_size: 64
  - .args:
      - .offset:         0
        .size:           56
        .value_kind:     by_value
      - .offset:         56
        .size:           56
        .value_kind:     by_value
      - .offset:         112
        .size:           4
        .value_kind:     by_value
      - .offset:         116
        .size:           4
        .value_kind:     by_value
      - .offset:         120
        .size:           4
        .value_kind:     by_value
      - .offset:         128
        .size:           4
        .value_kind:     hidden_block_count_x
      - .offset:         132
        .size:           4
        .value_kind:     hidden_block_count_y
      - .offset:         136
        .size:           4
        .value_kind:     hidden_block_count_z
      - .offset:         140
        .size:           2
        .value_kind:     hidden_group_size_x
      - .offset:         142
        .size:           2
        .value_kind:     hidden_group_size_y
      - .offset:         144
        .size:           2
        .value_kind:     hidden_group_size_z
      - .offset:         146
        .size:           2
        .value_kind:     hidden_remainder_x
      - .offset:         148
        .size:           2
        .value_kind:     hidden_remainder_y
      - .offset:         150
        .size:           2
        .value_kind:     hidden_remainder_z
      - .offset:         168
        .size:           8
        .value_kind:     hidden_global_offset_x
      - .offset:         176
        .size:           8
        .value_kind:     hidden_global_offset_y
      - .offset:         184
        .size:           8
        .value_kind:     hidden_global_offset_z
      - .offset:         192
        .size:           2
        .value_kind:     hidden_grid_dims
    .group_segment_fixed_size: 0
    .kernarg_segment_align: 8
    .kernarg_segment_size: 384
    .language:       OpenCL C
    .language_version:
      - 2
      - 0
    .max_flat_workgroup_size: 1024
    .name:           _ZN2at6native12_GLOBAL__N_132replication_pad_forward_kernel1dIaEEvN5torch10headeronly6detail27GenericPackedTensorAccessorINS5_14TensorAccessorIN3c108ArrayRefIlEEKT_Lm2ENS4_16DefaultPtrTraitsElEENS_6detail16IndexBoundsCheckILm3ElEESC_Lm3ESD_lEENS6_INS7_ISA_SB_Lm2ESD_lEESH_SB_Lm3ESD_lEEiii
    .private_segment_fixed_size: 0
    .sgpr_count:     24
    .sgpr_spill_count: 0
    .symbol:         _ZN2at6native12_GLOBAL__N_132replication_pad_forward_kernel1dIaEEvN5torch10headeronly6detail27GenericPackedTensorAccessorINS5_14TensorAccessorIN3c108ArrayRefIlEEKT_Lm2ENS4_16DefaultPtrTraitsElEENS_6detail16IndexBoundsCheckILm3ElEESC_Lm3ESD_lEENS6_INS7_ISA_SB_Lm2ESD_lEESH_SB_Lm3ESD_lEEiii.kd
    .uniform_work_group_size: 1
    .uses_dynamic_stack: false
    .vgpr_count:     9
    .vgpr_spill_count: 0
    .wavefront_size: 64
  - .args:
      - .offset:         0
        .size:           56
        .value_kind:     by_value
      - .offset:         56
        .size:           56
        .value_kind:     by_value
      - .offset:         112
        .size:           4
        .value_kind:     by_value
      - .offset:         116
        .size:           4
        .value_kind:     by_value
      - .offset:         120
        .size:           4
        .value_kind:     by_value
      - .offset:         128
        .size:           4
        .value_kind:     hidden_block_count_x
      - .offset:         132
        .size:           4
        .value_kind:     hidden_block_count_y
      - .offset:         136
        .size:           4
        .value_kind:     hidden_block_count_z
      - .offset:         140
        .size:           2
        .value_kind:     hidden_group_size_x
      - .offset:         142
        .size:           2
        .value_kind:     hidden_group_size_y
      - .offset:         144
        .size:           2
        .value_kind:     hidden_group_size_z
      - .offset:         146
        .size:           2
        .value_kind:     hidden_remainder_x
      - .offset:         148
        .size:           2
        .value_kind:     hidden_remainder_y
      - .offset:         150
        .size:           2
        .value_kind:     hidden_remainder_z
      - .offset:         168
        .size:           8
        .value_kind:     hidden_global_offset_x
      - .offset:         176
        .size:           8
        .value_kind:     hidden_global_offset_y
      - .offset:         184
        .size:           8
        .value_kind:     hidden_global_offset_z
      - .offset:         192
        .size:           2
        .value_kind:     hidden_grid_dims
    .group_segment_fixed_size: 0
    .kernarg_segment_align: 8
    .kernarg_segment_size: 384
    .language:       OpenCL C
    .language_version:
      - 2
      - 0
    .max_flat_workgroup_size: 1024
    .name:           _ZN2at6native12_GLOBAL__N_132replication_pad_forward_kernel1dIiEEvN5torch10headeronly6detail27GenericPackedTensorAccessorINS5_14TensorAccessorIN3c108ArrayRefIlEEKT_Lm2ENS4_16DefaultPtrTraitsElEENS_6detail16IndexBoundsCheckILm3ElEESC_Lm3ESD_lEENS6_INS7_ISA_SB_Lm2ESD_lEESH_SB_Lm3ESD_lEEiii
    .private_segment_fixed_size: 0
    .sgpr_count:     24
    .sgpr_spill_count: 0
    .symbol:         _ZN2at6native12_GLOBAL__N_132replication_pad_forward_kernel1dIiEEvN5torch10headeronly6detail27GenericPackedTensorAccessorINS5_14TensorAccessorIN3c108ArrayRefIlEEKT_Lm2ENS4_16DefaultPtrTraitsElEENS_6detail16IndexBoundsCheckILm3ElEESC_Lm3ESD_lEENS6_INS7_ISA_SB_Lm2ESD_lEESH_SB_Lm3ESD_lEEiii.kd
    .uniform_work_group_size: 1
    .uses_dynamic_stack: false
    .vgpr_count:     9
    .vgpr_spill_count: 0
    .wavefront_size: 64
  - .args:
      - .offset:         0
        .size:           56
        .value_kind:     by_value
      - .offset:         56
        .size:           56
        .value_kind:     by_value
      - .offset:         112
        .size:           4
        .value_kind:     by_value
      - .offset:         116
        .size:           4
        .value_kind:     by_value
      - .offset:         120
        .size:           4
        .value_kind:     by_value
      - .offset:         128
        .size:           4
        .value_kind:     hidden_block_count_x
      - .offset:         132
        .size:           4
        .value_kind:     hidden_block_count_y
      - .offset:         136
        .size:           4
        .value_kind:     hidden_block_count_z
      - .offset:         140
        .size:           2
        .value_kind:     hidden_group_size_x
      - .offset:         142
        .size:           2
        .value_kind:     hidden_group_size_y
      - .offset:         144
        .size:           2
        .value_kind:     hidden_group_size_z
      - .offset:         146
        .size:           2
        .value_kind:     hidden_remainder_x
      - .offset:         148
        .size:           2
        .value_kind:     hidden_remainder_y
      - .offset:         150
        .size:           2
        .value_kind:     hidden_remainder_z
      - .offset:         168
        .size:           8
        .value_kind:     hidden_global_offset_x
      - .offset:         176
        .size:           8
        .value_kind:     hidden_global_offset_y
      - .offset:         184
        .size:           8
        .value_kind:     hidden_global_offset_z
      - .offset:         192
        .size:           2
        .value_kind:     hidden_grid_dims
    .group_segment_fixed_size: 0
    .kernarg_segment_align: 8
    .kernarg_segment_size: 384
    .language:       OpenCL C
    .language_version:
      - 2
      - 0
    .max_flat_workgroup_size: 1024
    .name:           _ZN2at6native12_GLOBAL__N_132replication_pad_forward_kernel1dIlEEvN5torch10headeronly6detail27GenericPackedTensorAccessorINS5_14TensorAccessorIN3c108ArrayRefIlEEKT_Lm2ENS4_16DefaultPtrTraitsElEENS_6detail16IndexBoundsCheckILm3ElEESC_Lm3ESD_lEENS6_INS7_ISA_SB_Lm2ESD_lEESH_SB_Lm3ESD_lEEiii
    .private_segment_fixed_size: 0
    .sgpr_count:     24
    .sgpr_spill_count: 0
    .symbol:         _ZN2at6native12_GLOBAL__N_132replication_pad_forward_kernel1dIlEEvN5torch10headeronly6detail27GenericPackedTensorAccessorINS5_14TensorAccessorIN3c108ArrayRefIlEEKT_Lm2ENS4_16DefaultPtrTraitsElEENS_6detail16IndexBoundsCheckILm3ElEESC_Lm3ESD_lEENS6_INS7_ISA_SB_Lm2ESD_lEESH_SB_Lm3ESD_lEEiii.kd
    .uniform_work_group_size: 1
    .uses_dynamic_stack: false
    .vgpr_count:     9
    .vgpr_spill_count: 0
    .wavefront_size: 64
  - .args:
      - .offset:         0
        .size:           56
        .value_kind:     by_value
      - .offset:         56
        .size:           56
        .value_kind:     by_value
      - .offset:         112
        .size:           4
        .value_kind:     by_value
      - .offset:         116
        .size:           4
        .value_kind:     by_value
      - .offset:         120
        .size:           4
        .value_kind:     by_value
      - .offset:         128
        .size:           4
        .value_kind:     hidden_block_count_x
      - .offset:         132
        .size:           4
        .value_kind:     hidden_block_count_y
      - .offset:         136
        .size:           4
        .value_kind:     hidden_block_count_z
      - .offset:         140
        .size:           2
        .value_kind:     hidden_group_size_x
      - .offset:         142
        .size:           2
        .value_kind:     hidden_group_size_y
      - .offset:         144
        .size:           2
        .value_kind:     hidden_group_size_z
      - .offset:         146
        .size:           2
        .value_kind:     hidden_remainder_x
      - .offset:         148
        .size:           2
        .value_kind:     hidden_remainder_y
      - .offset:         150
        .size:           2
        .value_kind:     hidden_remainder_z
      - .offset:         168
        .size:           8
        .value_kind:     hidden_global_offset_x
      - .offset:         176
        .size:           8
        .value_kind:     hidden_global_offset_y
      - .offset:         184
        .size:           8
        .value_kind:     hidden_global_offset_z
      - .offset:         192
        .size:           2
        .value_kind:     hidden_grid_dims
    .group_segment_fixed_size: 0
    .kernarg_segment_align: 8
    .kernarg_segment_size: 384
    .language:       OpenCL C
    .language_version:
      - 2
      - 0
    .max_flat_workgroup_size: 1024
    .name:           _ZN2at6native12_GLOBAL__N_132replication_pad_forward_kernel1dIsEEvN5torch10headeronly6detail27GenericPackedTensorAccessorINS5_14TensorAccessorIN3c108ArrayRefIlEEKT_Lm2ENS4_16DefaultPtrTraitsElEENS_6detail16IndexBoundsCheckILm3ElEESC_Lm3ESD_lEENS6_INS7_ISA_SB_Lm2ESD_lEESH_SB_Lm3ESD_lEEiii
    .private_segment_fixed_size: 0
    .sgpr_count:     24
    .sgpr_spill_count: 0
    .symbol:         _ZN2at6native12_GLOBAL__N_132replication_pad_forward_kernel1dIsEEvN5torch10headeronly6detail27GenericPackedTensorAccessorINS5_14TensorAccessorIN3c108ArrayRefIlEEKT_Lm2ENS4_16DefaultPtrTraitsElEENS_6detail16IndexBoundsCheckILm3ElEESC_Lm3ESD_lEENS6_INS7_ISA_SB_Lm2ESD_lEESH_SB_Lm3ESD_lEEiii.kd
    .uniform_work_group_size: 1
    .uses_dynamic_stack: false
    .vgpr_count:     9
    .vgpr_spill_count: 0
    .wavefront_size: 64
  - .args:
      - .offset:         0
        .size:           56
        .value_kind:     by_value
      - .offset:         56
        .size:           56
        .value_kind:     by_value
      - .offset:         112
        .size:           4
        .value_kind:     by_value
      - .offset:         116
        .size:           4
        .value_kind:     by_value
      - .offset:         120
        .size:           4
        .value_kind:     by_value
      - .offset:         128
        .size:           4
        .value_kind:     hidden_block_count_x
      - .offset:         132
        .size:           4
        .value_kind:     hidden_block_count_y
      - .offset:         136
        .size:           4
        .value_kind:     hidden_block_count_z
      - .offset:         140
        .size:           2
        .value_kind:     hidden_group_size_x
      - .offset:         142
        .size:           2
        .value_kind:     hidden_group_size_y
      - .offset:         144
        .size:           2
        .value_kind:     hidden_group_size_z
      - .offset:         146
        .size:           2
        .value_kind:     hidden_remainder_x
      - .offset:         148
        .size:           2
        .value_kind:     hidden_remainder_y
      - .offset:         150
        .size:           2
        .value_kind:     hidden_remainder_z
      - .offset:         168
        .size:           8
        .value_kind:     hidden_global_offset_x
      - .offset:         176
        .size:           8
        .value_kind:     hidden_global_offset_y
      - .offset:         184
        .size:           8
        .value_kind:     hidden_global_offset_z
      - .offset:         192
        .size:           2
        .value_kind:     hidden_grid_dims
    .group_segment_fixed_size: 0
    .kernarg_segment_align: 8
    .kernarg_segment_size: 384
    .language:       OpenCL C
    .language_version:
      - 2
      - 0
    .max_flat_workgroup_size: 1024
    .name:           _ZN2at6native12_GLOBAL__N_132replication_pad_forward_kernel1dIdEEvN5torch10headeronly6detail27GenericPackedTensorAccessorINS5_14TensorAccessorIN3c108ArrayRefIlEEKT_Lm2ENS4_16DefaultPtrTraitsElEENS_6detail16IndexBoundsCheckILm3ElEESC_Lm3ESD_lEENS6_INS7_ISA_SB_Lm2ESD_lEESH_SB_Lm3ESD_lEEiii
    .private_segment_fixed_size: 0
    .sgpr_count:     24
    .sgpr_spill_count: 0
    .symbol:         _ZN2at6native12_GLOBAL__N_132replication_pad_forward_kernel1dIdEEvN5torch10headeronly6detail27GenericPackedTensorAccessorINS5_14TensorAccessorIN3c108ArrayRefIlEEKT_Lm2ENS4_16DefaultPtrTraitsElEENS_6detail16IndexBoundsCheckILm3ElEESC_Lm3ESD_lEENS6_INS7_ISA_SB_Lm2ESD_lEESH_SB_Lm3ESD_lEEiii.kd
    .uniform_work_group_size: 1
    .uses_dynamic_stack: false
    .vgpr_count:     9
    .vgpr_spill_count: 0
    .wavefront_size: 64
  - .args:
      - .offset:         0
        .size:           56
        .value_kind:     by_value
      - .offset:         56
        .size:           56
        .value_kind:     by_value
      - .offset:         112
        .size:           4
        .value_kind:     by_value
      - .offset:         116
        .size:           4
        .value_kind:     by_value
      - .offset:         120
        .size:           4
        .value_kind:     by_value
      - .offset:         128
        .size:           4
        .value_kind:     hidden_block_count_x
      - .offset:         132
        .size:           4
        .value_kind:     hidden_block_count_y
      - .offset:         136
        .size:           4
        .value_kind:     hidden_block_count_z
      - .offset:         140
        .size:           2
        .value_kind:     hidden_group_size_x
      - .offset:         142
        .size:           2
        .value_kind:     hidden_group_size_y
      - .offset:         144
        .size:           2
        .value_kind:     hidden_group_size_z
      - .offset:         146
        .size:           2
        .value_kind:     hidden_remainder_x
      - .offset:         148
        .size:           2
        .value_kind:     hidden_remainder_y
      - .offset:         150
        .size:           2
        .value_kind:     hidden_remainder_z
      - .offset:         168
        .size:           8
        .value_kind:     hidden_global_offset_x
      - .offset:         176
        .size:           8
        .value_kind:     hidden_global_offset_y
      - .offset:         184
        .size:           8
        .value_kind:     hidden_global_offset_z
      - .offset:         192
        .size:           2
        .value_kind:     hidden_grid_dims
    .group_segment_fixed_size: 0
    .kernarg_segment_align: 8
    .kernarg_segment_size: 384
    .language:       OpenCL C
    .language_version:
      - 2
      - 0
    .max_flat_workgroup_size: 1024
    .name:           _ZN2at6native12_GLOBAL__N_132replication_pad_forward_kernel1dIfEEvN5torch10headeronly6detail27GenericPackedTensorAccessorINS5_14TensorAccessorIN3c108ArrayRefIlEEKT_Lm2ENS4_16DefaultPtrTraitsElEENS_6detail16IndexBoundsCheckILm3ElEESC_Lm3ESD_lEENS6_INS7_ISA_SB_Lm2ESD_lEESH_SB_Lm3ESD_lEEiii
    .private_segment_fixed_size: 0
    .sgpr_count:     24
    .sgpr_spill_count: 0
    .symbol:         _ZN2at6native12_GLOBAL__N_132replication_pad_forward_kernel1dIfEEvN5torch10headeronly6detail27GenericPackedTensorAccessorINS5_14TensorAccessorIN3c108ArrayRefIlEEKT_Lm2ENS4_16DefaultPtrTraitsElEENS_6detail16IndexBoundsCheckILm3ElEESC_Lm3ESD_lEENS6_INS7_ISA_SB_Lm2ESD_lEESH_SB_Lm3ESD_lEEiii.kd
    .uniform_work_group_size: 1
    .uses_dynamic_stack: false
    .vgpr_count:     9
    .vgpr_spill_count: 0
    .wavefront_size: 64
  - .args:
      - .offset:         0
        .size:           56
        .value_kind:     by_value
      - .offset:         56
        .size:           56
        .value_kind:     by_value
      - .offset:         112
        .size:           4
        .value_kind:     by_value
      - .offset:         116
        .size:           4
        .value_kind:     by_value
      - .offset:         120
        .size:           4
        .value_kind:     by_value
      - .offset:         128
        .size:           4
        .value_kind:     hidden_block_count_x
      - .offset:         132
        .size:           4
        .value_kind:     hidden_block_count_y
      - .offset:         136
        .size:           4
        .value_kind:     hidden_block_count_z
      - .offset:         140
        .size:           2
        .value_kind:     hidden_group_size_x
      - .offset:         142
        .size:           2
        .value_kind:     hidden_group_size_y
      - .offset:         144
        .size:           2
        .value_kind:     hidden_group_size_z
      - .offset:         146
        .size:           2
        .value_kind:     hidden_remainder_x
      - .offset:         148
        .size:           2
        .value_kind:     hidden_remainder_y
      - .offset:         150
        .size:           2
        .value_kind:     hidden_remainder_z
      - .offset:         168
        .size:           8
        .value_kind:     hidden_global_offset_x
      - .offset:         176
        .size:           8
        .value_kind:     hidden_global_offset_y
      - .offset:         184
        .size:           8
        .value_kind:     hidden_global_offset_z
      - .offset:         192
        .size:           2
        .value_kind:     hidden_grid_dims
    .group_segment_fixed_size: 0
    .kernarg_segment_align: 8
    .kernarg_segment_size: 384
    .language:       OpenCL C
    .language_version:
      - 2
      - 0
    .max_flat_workgroup_size: 1024
    .name:           _ZN2at6native12_GLOBAL__N_132replication_pad_forward_kernel1dIN3c107complexIdEEEEvN5torch10headeronly6detail27GenericPackedTensorAccessorINS8_14TensorAccessorINS3_8ArrayRefIlEEKT_Lm2ENS7_16DefaultPtrTraitsElEENS_6detail16IndexBoundsCheckILm3ElEESE_Lm3ESF_lEENS9_INSA_ISC_SD_Lm2ESF_lEESJ_SD_Lm3ESF_lEEiii
    .private_segment_fixed_size: 0
    .sgpr_count:     24
    .sgpr_spill_count: 0
    .symbol:         _ZN2at6native12_GLOBAL__N_132replication_pad_forward_kernel1dIN3c107complexIdEEEEvN5torch10headeronly6detail27GenericPackedTensorAccessorINS8_14TensorAccessorINS3_8ArrayRefIlEEKT_Lm2ENS7_16DefaultPtrTraitsElEENS_6detail16IndexBoundsCheckILm3ElEESE_Lm3ESF_lEENS9_INSA_ISC_SD_Lm2ESF_lEESJ_SD_Lm3ESF_lEEiii.kd
    .uniform_work_group_size: 1
    .uses_dynamic_stack: false
    .vgpr_count:     9
    .vgpr_spill_count: 0
    .wavefront_size: 64
  - .args:
      - .offset:         0
        .size:           56
        .value_kind:     by_value
      - .offset:         56
        .size:           56
        .value_kind:     by_value
      - .offset:         112
        .size:           4
        .value_kind:     by_value
      - .offset:         116
        .size:           4
        .value_kind:     by_value
      - .offset:         120
        .size:           4
        .value_kind:     by_value
      - .offset:         128
        .size:           4
        .value_kind:     hidden_block_count_x
      - .offset:         132
        .size:           4
        .value_kind:     hidden_block_count_y
      - .offset:         136
        .size:           4
        .value_kind:     hidden_block_count_z
      - .offset:         140
        .size:           2
        .value_kind:     hidden_group_size_x
      - .offset:         142
        .size:           2
        .value_kind:     hidden_group_size_y
      - .offset:         144
        .size:           2
        .value_kind:     hidden_group_size_z
      - .offset:         146
        .size:           2
        .value_kind:     hidden_remainder_x
      - .offset:         148
        .size:           2
        .value_kind:     hidden_remainder_y
      - .offset:         150
        .size:           2
        .value_kind:     hidden_remainder_z
      - .offset:         168
        .size:           8
        .value_kind:     hidden_global_offset_x
      - .offset:         176
        .size:           8
        .value_kind:     hidden_global_offset_y
      - .offset:         184
        .size:           8
        .value_kind:     hidden_global_offset_z
      - .offset:         192
        .size:           2
        .value_kind:     hidden_grid_dims
    .group_segment_fixed_size: 0
    .kernarg_segment_align: 8
    .kernarg_segment_size: 384
    .language:       OpenCL C
    .language_version:
      - 2
      - 0
    .max_flat_workgroup_size: 1024
    .name:           _ZN2at6native12_GLOBAL__N_132replication_pad_forward_kernel1dIN3c107complexIfEEEEvN5torch10headeronly6detail27GenericPackedTensorAccessorINS8_14TensorAccessorINS3_8ArrayRefIlEEKT_Lm2ENS7_16DefaultPtrTraitsElEENS_6detail16IndexBoundsCheckILm3ElEESE_Lm3ESF_lEENS9_INSA_ISC_SD_Lm2ESF_lEESJ_SD_Lm3ESF_lEEiii
    .private_segment_fixed_size: 0
    .sgpr_count:     24
    .sgpr_spill_count: 0
    .symbol:         _ZN2at6native12_GLOBAL__N_132replication_pad_forward_kernel1dIN3c107complexIfEEEEvN5torch10headeronly6detail27GenericPackedTensorAccessorINS8_14TensorAccessorINS3_8ArrayRefIlEEKT_Lm2ENS7_16DefaultPtrTraitsElEENS_6detail16IndexBoundsCheckILm3ElEESE_Lm3ESF_lEENS9_INSA_ISC_SD_Lm2ESF_lEESJ_SD_Lm3ESF_lEEiii.kd
    .uniform_work_group_size: 1
    .uses_dynamic_stack: false
    .vgpr_count:     9
    .vgpr_spill_count: 0
    .wavefront_size: 64
  - .args:
      - .offset:         0
        .size:           56
        .value_kind:     by_value
      - .offset:         56
        .size:           56
        .value_kind:     by_value
      - .offset:         112
        .size:           4
        .value_kind:     by_value
      - .offset:         116
        .size:           4
        .value_kind:     by_value
      - .offset:         120
        .size:           4
        .value_kind:     by_value
      - .offset:         128
        .size:           4
        .value_kind:     hidden_block_count_x
      - .offset:         132
        .size:           4
        .value_kind:     hidden_block_count_y
      - .offset:         136
        .size:           4
        .value_kind:     hidden_block_count_z
      - .offset:         140
        .size:           2
        .value_kind:     hidden_group_size_x
      - .offset:         142
        .size:           2
        .value_kind:     hidden_group_size_y
      - .offset:         144
        .size:           2
        .value_kind:     hidden_group_size_z
      - .offset:         146
        .size:           2
        .value_kind:     hidden_remainder_x
      - .offset:         148
        .size:           2
        .value_kind:     hidden_remainder_y
      - .offset:         150
        .size:           2
        .value_kind:     hidden_remainder_z
      - .offset:         168
        .size:           8
        .value_kind:     hidden_global_offset_x
      - .offset:         176
        .size:           8
        .value_kind:     hidden_global_offset_y
      - .offset:         184
        .size:           8
        .value_kind:     hidden_global_offset_z
      - .offset:         192
        .size:           2
        .value_kind:     hidden_grid_dims
    .group_segment_fixed_size: 0
    .kernarg_segment_align: 8
    .kernarg_segment_size: 384
    .language:       OpenCL C
    .language_version:
      - 2
      - 0
    .max_flat_workgroup_size: 1024
    .name:           _ZN2at6native12_GLOBAL__N_132replication_pad_forward_kernel1dIN3c104HalfEEEvN5torch10headeronly6detail27GenericPackedTensorAccessorINS7_14TensorAccessorINS3_8ArrayRefIlEEKT_Lm2ENS6_16DefaultPtrTraitsElEENS_6detail16IndexBoundsCheckILm3ElEESD_Lm3ESE_lEENS8_INS9_ISB_SC_Lm2ESE_lEESI_SC_Lm3ESE_lEEiii
    .private_segment_fixed_size: 0
    .sgpr_count:     24
    .sgpr_spill_count: 0
    .symbol:         _ZN2at6native12_GLOBAL__N_132replication_pad_forward_kernel1dIN3c104HalfEEEvN5torch10headeronly6detail27GenericPackedTensorAccessorINS7_14TensorAccessorINS3_8ArrayRefIlEEKT_Lm2ENS6_16DefaultPtrTraitsElEENS_6detail16IndexBoundsCheckILm3ElEESD_Lm3ESE_lEENS8_INS9_ISB_SC_Lm2ESE_lEESI_SC_Lm3ESE_lEEiii.kd
    .uniform_work_group_size: 1
    .uses_dynamic_stack: false
    .vgpr_count:     9
    .vgpr_spill_count: 0
    .wavefront_size: 64
  - .args:
      - .offset:         0
        .size:           56
        .value_kind:     by_value
      - .offset:         56
        .size:           56
        .value_kind:     by_value
      - .offset:         112
        .size:           4
        .value_kind:     by_value
      - .offset:         116
        .size:           4
        .value_kind:     by_value
      - .offset:         120
        .size:           4
        .value_kind:     by_value
      - .offset:         128
        .size:           4
        .value_kind:     hidden_block_count_x
      - .offset:         132
        .size:           4
        .value_kind:     hidden_block_count_y
      - .offset:         136
        .size:           4
        .value_kind:     hidden_block_count_z
      - .offset:         140
        .size:           2
        .value_kind:     hidden_group_size_x
      - .offset:         142
        .size:           2
        .value_kind:     hidden_group_size_y
      - .offset:         144
        .size:           2
        .value_kind:     hidden_group_size_z
      - .offset:         146
        .size:           2
        .value_kind:     hidden_remainder_x
      - .offset:         148
        .size:           2
        .value_kind:     hidden_remainder_y
      - .offset:         150
        .size:           2
        .value_kind:     hidden_remainder_z
      - .offset:         168
        .size:           8
        .value_kind:     hidden_global_offset_x
      - .offset:         176
        .size:           8
        .value_kind:     hidden_global_offset_y
      - .offset:         184
        .size:           8
        .value_kind:     hidden_global_offset_z
      - .offset:         192
        .size:           2
        .value_kind:     hidden_grid_dims
    .group_segment_fixed_size: 0
    .kernarg_segment_align: 8
    .kernarg_segment_size: 384
    .language:       OpenCL C
    .language_version:
      - 2
      - 0
    .max_flat_workgroup_size: 1024
    .name:           _ZN2at6native12_GLOBAL__N_132replication_pad_forward_kernel1dIN3c108BFloat16EEEvN5torch10headeronly6detail27GenericPackedTensorAccessorINS7_14TensorAccessorINS3_8ArrayRefIlEEKT_Lm2ENS6_16DefaultPtrTraitsElEENS_6detail16IndexBoundsCheckILm3ElEESD_Lm3ESE_lEENS8_INS9_ISB_SC_Lm2ESE_lEESI_SC_Lm3ESE_lEEiii
    .private_segment_fixed_size: 0
    .sgpr_count:     24
    .sgpr_spill_count: 0
    .symbol:         _ZN2at6native12_GLOBAL__N_132replication_pad_forward_kernel1dIN3c108BFloat16EEEvN5torch10headeronly6detail27GenericPackedTensorAccessorINS7_14TensorAccessorINS3_8ArrayRefIlEEKT_Lm2ENS6_16DefaultPtrTraitsElEENS_6detail16IndexBoundsCheckILm3ElEESD_Lm3ESE_lEENS8_INS9_ISB_SC_Lm2ESE_lEESI_SC_Lm3ESE_lEEiii.kd
    .uniform_work_group_size: 1
    .uses_dynamic_stack: false
    .vgpr_count:     9
    .vgpr_spill_count: 0
    .wavefront_size: 64
  - .args:
      - .offset:         0
        .size:           56
        .value_kind:     by_value
      - .offset:         56
        .size:           56
        .value_kind:     by_value
      - .offset:         112
        .size:           4
        .value_kind:     by_value
      - .offset:         116
        .size:           4
        .value_kind:     by_value
      - .offset:         120
        .size:           4
        .value_kind:     by_value
      - .offset:         128
        .size:           4
        .value_kind:     hidden_block_count_x
      - .offset:         132
        .size:           4
        .value_kind:     hidden_block_count_y
      - .offset:         136
        .size:           4
        .value_kind:     hidden_block_count_z
      - .offset:         140
        .size:           2
        .value_kind:     hidden_group_size_x
      - .offset:         142
        .size:           2
        .value_kind:     hidden_group_size_y
      - .offset:         144
        .size:           2
        .value_kind:     hidden_group_size_z
      - .offset:         146
        .size:           2
        .value_kind:     hidden_remainder_x
      - .offset:         148
        .size:           2
        .value_kind:     hidden_remainder_y
      - .offset:         150
        .size:           2
        .value_kind:     hidden_remainder_z
      - .offset:         168
        .size:           8
        .value_kind:     hidden_global_offset_x
      - .offset:         176
        .size:           8
        .value_kind:     hidden_global_offset_y
      - .offset:         184
        .size:           8
        .value_kind:     hidden_global_offset_z
      - .offset:         192
        .size:           2
        .value_kind:     hidden_grid_dims
    .group_segment_fixed_size: 0
    .kernarg_segment_align: 8
    .kernarg_segment_size: 384
    .language:       OpenCL C
    .language_version:
      - 2
      - 0
    .max_flat_workgroup_size: 1024
    .name:           _ZN2at6native12_GLOBAL__N_131replication_pad_backward_kernelIdEEvN5torch10headeronly6detail27GenericPackedTensorAccessorINS5_14TensorAccessorIN3c108ArrayRefIlEET_Lm2ENS4_16DefaultPtrTraitsElEENS_6detail16IndexBoundsCheckILm3ElEESB_Lm3ESC_lEENS6_INS7_ISA_KSB_Lm2ESC_lEESG_SI_Lm3ESC_lEEiii
    .private_segment_fixed_size: 0
    .sgpr_count:     27
    .sgpr_spill_count: 0
    .symbol:         _ZN2at6native12_GLOBAL__N_131replication_pad_backward_kernelIdEEvN5torch10headeronly6detail27GenericPackedTensorAccessorINS5_14TensorAccessorIN3c108ArrayRefIlEET_Lm2ENS4_16DefaultPtrTraitsElEENS_6detail16IndexBoundsCheckILm3ElEESB_Lm3ESC_lEENS6_INS7_ISA_KSB_Lm2ESC_lEESG_SI_Lm3ESC_lEEiii.kd
    .uniform_work_group_size: 1
    .uses_dynamic_stack: false
    .vgpr_count:     9
    .vgpr_spill_count: 0
    .wavefront_size: 64
  - .args:
      - .offset:         0
        .size:           56
        .value_kind:     by_value
      - .offset:         56
        .size:           56
        .value_kind:     by_value
      - .offset:         112
        .size:           4
        .value_kind:     by_value
      - .offset:         116
        .size:           4
        .value_kind:     by_value
      - .offset:         120
        .size:           4
        .value_kind:     by_value
      - .offset:         128
        .size:           4
        .value_kind:     hidden_block_count_x
      - .offset:         132
        .size:           4
        .value_kind:     hidden_block_count_y
      - .offset:         136
        .size:           4
        .value_kind:     hidden_block_count_z
      - .offset:         140
        .size:           2
        .value_kind:     hidden_group_size_x
      - .offset:         142
        .size:           2
        .value_kind:     hidden_group_size_y
      - .offset:         144
        .size:           2
        .value_kind:     hidden_group_size_z
      - .offset:         146
        .size:           2
        .value_kind:     hidden_remainder_x
      - .offset:         148
        .size:           2
        .value_kind:     hidden_remainder_y
      - .offset:         150
        .size:           2
        .value_kind:     hidden_remainder_z
      - .offset:         168
        .size:           8
        .value_kind:     hidden_global_offset_x
      - .offset:         176
        .size:           8
        .value_kind:     hidden_global_offset_y
      - .offset:         184
        .size:           8
        .value_kind:     hidden_global_offset_z
      - .offset:         192
        .size:           2
        .value_kind:     hidden_grid_dims
    .group_segment_fixed_size: 0
    .kernarg_segment_align: 8
    .kernarg_segment_size: 384
    .language:       OpenCL C
    .language_version:
      - 2
      - 0
    .max_flat_workgroup_size: 1024
    .name:           _ZN2at6native12_GLOBAL__N_131replication_pad_backward_kernelIfEEvN5torch10headeronly6detail27GenericPackedTensorAccessorINS5_14TensorAccessorIN3c108ArrayRefIlEET_Lm2ENS4_16DefaultPtrTraitsElEENS_6detail16IndexBoundsCheckILm3ElEESB_Lm3ESC_lEENS6_INS7_ISA_KSB_Lm2ESC_lEESG_SI_Lm3ESC_lEEiii
    .private_segment_fixed_size: 0
    .sgpr_count:     27
    .sgpr_spill_count: 0
    .symbol:         _ZN2at6native12_GLOBAL__N_131replication_pad_backward_kernelIfEEvN5torch10headeronly6detail27GenericPackedTensorAccessorINS5_14TensorAccessorIN3c108ArrayRefIlEET_Lm2ENS4_16DefaultPtrTraitsElEENS_6detail16IndexBoundsCheckILm3ElEESB_Lm3ESC_lEENS6_INS7_ISA_KSB_Lm2ESC_lEESG_SI_Lm3ESC_lEEiii.kd
    .uniform_work_group_size: 1
    .uses_dynamic_stack: false
    .vgpr_count:     9
    .vgpr_spill_count: 0
    .wavefront_size: 64
  - .args:
      - .offset:         0
        .size:           56
        .value_kind:     by_value
      - .offset:         56
        .size:           56
        .value_kind:     by_value
      - .offset:         112
        .size:           4
        .value_kind:     by_value
      - .offset:         116
        .size:           4
        .value_kind:     by_value
      - .offset:         120
        .size:           4
        .value_kind:     by_value
      - .offset:         128
        .size:           4
        .value_kind:     hidden_block_count_x
      - .offset:         132
        .size:           4
        .value_kind:     hidden_block_count_y
      - .offset:         136
        .size:           4
        .value_kind:     hidden_block_count_z
      - .offset:         140
        .size:           2
        .value_kind:     hidden_group_size_x
      - .offset:         142
        .size:           2
        .value_kind:     hidden_group_size_y
      - .offset:         144
        .size:           2
        .value_kind:     hidden_group_size_z
      - .offset:         146
        .size:           2
        .value_kind:     hidden_remainder_x
      - .offset:         148
        .size:           2
        .value_kind:     hidden_remainder_y
      - .offset:         150
        .size:           2
        .value_kind:     hidden_remainder_z
      - .offset:         168
        .size:           8
        .value_kind:     hidden_global_offset_x
      - .offset:         176
        .size:           8
        .value_kind:     hidden_global_offset_y
      - .offset:         184
        .size:           8
        .value_kind:     hidden_global_offset_z
      - .offset:         192
        .size:           2
        .value_kind:     hidden_grid_dims
    .group_segment_fixed_size: 0
    .kernarg_segment_align: 8
    .kernarg_segment_size: 384
    .language:       OpenCL C
    .language_version:
      - 2
      - 0
    .max_flat_workgroup_size: 1024
    .name:           _ZN2at6native12_GLOBAL__N_131replication_pad_backward_kernelIN3c107complexIdEEEEvN5torch10headeronly6detail27GenericPackedTensorAccessorINS8_14TensorAccessorINS3_8ArrayRefIlEET_Lm2ENS7_16DefaultPtrTraitsElEENS_6detail16IndexBoundsCheckILm3ElEESD_Lm3ESE_lEENS9_INSA_ISC_KSD_Lm2ESE_lEESI_SK_Lm3ESE_lEEiii
    .private_segment_fixed_size: 0
    .sgpr_count:     27
    .sgpr_spill_count: 0
    .symbol:         _ZN2at6native12_GLOBAL__N_131replication_pad_backward_kernelIN3c107complexIdEEEEvN5torch10headeronly6detail27GenericPackedTensorAccessorINS8_14TensorAccessorINS3_8ArrayRefIlEET_Lm2ENS7_16DefaultPtrTraitsElEENS_6detail16IndexBoundsCheckILm3ElEESD_Lm3ESE_lEENS9_INSA_ISC_KSD_Lm2ESE_lEESI_SK_Lm3ESE_lEEiii.kd
    .uniform_work_group_size: 1
    .uses_dynamic_stack: false
    .vgpr_count:     10
    .vgpr_spill_count: 0
    .wavefront_size: 64
  - .args:
      - .offset:         0
        .size:           56
        .value_kind:     by_value
      - .offset:         56
        .size:           56
        .value_kind:     by_value
      - .offset:         112
        .size:           4
        .value_kind:     by_value
      - .offset:         116
        .size:           4
        .value_kind:     by_value
      - .offset:         120
        .size:           4
        .value_kind:     by_value
      - .offset:         128
        .size:           4
        .value_kind:     hidden_block_count_x
      - .offset:         132
        .size:           4
        .value_kind:     hidden_block_count_y
      - .offset:         136
        .size:           4
        .value_kind:     hidden_block_count_z
      - .offset:         140
        .size:           2
        .value_kind:     hidden_group_size_x
      - .offset:         142
        .size:           2
        .value_kind:     hidden_group_size_y
      - .offset:         144
        .size:           2
        .value_kind:     hidden_group_size_z
      - .offset:         146
        .size:           2
        .value_kind:     hidden_remainder_x
      - .offset:         148
        .size:           2
        .value_kind:     hidden_remainder_y
      - .offset:         150
        .size:           2
        .value_kind:     hidden_remainder_z
      - .offset:         168
        .size:           8
        .value_kind:     hidden_global_offset_x
      - .offset:         176
        .size:           8
        .value_kind:     hidden_global_offset_y
      - .offset:         184
        .size:           8
        .value_kind:     hidden_global_offset_z
      - .offset:         192
        .size:           2
        .value_kind:     hidden_grid_dims
    .group_segment_fixed_size: 0
    .kernarg_segment_align: 8
    .kernarg_segment_size: 384
    .language:       OpenCL C
    .language_version:
      - 2
      - 0
    .max_flat_workgroup_size: 1024
    .name:           _ZN2at6native12_GLOBAL__N_131replication_pad_backward_kernelIN3c107complexIfEEEEvN5torch10headeronly6detail27GenericPackedTensorAccessorINS8_14TensorAccessorINS3_8ArrayRefIlEET_Lm2ENS7_16DefaultPtrTraitsElEENS_6detail16IndexBoundsCheckILm3ElEESD_Lm3ESE_lEENS9_INSA_ISC_KSD_Lm2ESE_lEESI_SK_Lm3ESE_lEEiii
    .private_segment_fixed_size: 0
    .sgpr_count:     27
    .sgpr_spill_count: 0
    .symbol:         _ZN2at6native12_GLOBAL__N_131replication_pad_backward_kernelIN3c107complexIfEEEEvN5torch10headeronly6detail27GenericPackedTensorAccessorINS8_14TensorAccessorINS3_8ArrayRefIlEET_Lm2ENS7_16DefaultPtrTraitsElEENS_6detail16IndexBoundsCheckILm3ElEESD_Lm3ESE_lEENS9_INSA_ISC_KSD_Lm2ESE_lEESI_SK_Lm3ESE_lEEiii.kd
    .uniform_work_group_size: 1
    .uses_dynamic_stack: false
    .vgpr_count:     9
    .vgpr_spill_count: 0
    .wavefront_size: 64
  - .args:
      - .offset:         0
        .size:           56
        .value_kind:     by_value
      - .offset:         56
        .size:           56
        .value_kind:     by_value
      - .offset:         112
        .size:           4
        .value_kind:     by_value
      - .offset:         116
        .size:           4
        .value_kind:     by_value
      - .offset:         120
        .size:           4
        .value_kind:     by_value
      - .offset:         128
        .size:           4
        .value_kind:     hidden_block_count_x
      - .offset:         132
        .size:           4
        .value_kind:     hidden_block_count_y
      - .offset:         136
        .size:           4
        .value_kind:     hidden_block_count_z
      - .offset:         140
        .size:           2
        .value_kind:     hidden_group_size_x
      - .offset:         142
        .size:           2
        .value_kind:     hidden_group_size_y
      - .offset:         144
        .size:           2
        .value_kind:     hidden_group_size_z
      - .offset:         146
        .size:           2
        .value_kind:     hidden_remainder_x
      - .offset:         148
        .size:           2
        .value_kind:     hidden_remainder_y
      - .offset:         150
        .size:           2
        .value_kind:     hidden_remainder_z
      - .offset:         168
        .size:           8
        .value_kind:     hidden_global_offset_x
      - .offset:         176
        .size:           8
        .value_kind:     hidden_global_offset_y
      - .offset:         184
        .size:           8
        .value_kind:     hidden_global_offset_z
      - .offset:         192
        .size:           2
        .value_kind:     hidden_grid_dims
    .group_segment_fixed_size: 0
    .kernarg_segment_align: 8
    .kernarg_segment_size: 384
    .language:       OpenCL C
    .language_version:
      - 2
      - 0
    .max_flat_workgroup_size: 1024
    .name:           _ZN2at6native12_GLOBAL__N_131replication_pad_backward_kernelIN3c104HalfEEEvN5torch10headeronly6detail27GenericPackedTensorAccessorINS7_14TensorAccessorINS3_8ArrayRefIlEET_Lm2ENS6_16DefaultPtrTraitsElEENS_6detail16IndexBoundsCheckILm3ElEESC_Lm3ESD_lEENS8_INS9_ISB_KSC_Lm2ESD_lEESH_SJ_Lm3ESD_lEEiii
    .private_segment_fixed_size: 0
    .sgpr_count:     27
    .sgpr_spill_count: 0
    .symbol:         _ZN2at6native12_GLOBAL__N_131replication_pad_backward_kernelIN3c104HalfEEEvN5torch10headeronly6detail27GenericPackedTensorAccessorINS7_14TensorAccessorINS3_8ArrayRefIlEET_Lm2ENS6_16DefaultPtrTraitsElEENS_6detail16IndexBoundsCheckILm3ElEESC_Lm3ESD_lEENS8_INS9_ISB_KSC_Lm2ESD_lEESH_SJ_Lm3ESD_lEEiii.kd
    .uniform_work_group_size: 1
    .uses_dynamic_stack: false
    .vgpr_count:     9
    .vgpr_spill_count: 0
    .wavefront_size: 64
  - .args:
      - .offset:         0
        .size:           56
        .value_kind:     by_value
      - .offset:         56
        .size:           56
        .value_kind:     by_value
      - .offset:         112
        .size:           4
        .value_kind:     by_value
      - .offset:         116
        .size:           4
        .value_kind:     by_value
      - .offset:         120
        .size:           4
        .value_kind:     by_value
      - .offset:         128
        .size:           4
        .value_kind:     hidden_block_count_x
      - .offset:         132
        .size:           4
        .value_kind:     hidden_block_count_y
      - .offset:         136
        .size:           4
        .value_kind:     hidden_block_count_z
      - .offset:         140
        .size:           2
        .value_kind:     hidden_group_size_x
      - .offset:         142
        .size:           2
        .value_kind:     hidden_group_size_y
      - .offset:         144
        .size:           2
        .value_kind:     hidden_group_size_z
      - .offset:         146
        .size:           2
        .value_kind:     hidden_remainder_x
      - .offset:         148
        .size:           2
        .value_kind:     hidden_remainder_y
      - .offset:         150
        .size:           2
        .value_kind:     hidden_remainder_z
      - .offset:         168
        .size:           8
        .value_kind:     hidden_global_offset_x
      - .offset:         176
        .size:           8
        .value_kind:     hidden_global_offset_y
      - .offset:         184
        .size:           8
        .value_kind:     hidden_global_offset_z
      - .offset:         192
        .size:           2
        .value_kind:     hidden_grid_dims
    .group_segment_fixed_size: 0
    .kernarg_segment_align: 8
    .kernarg_segment_size: 384
    .language:       OpenCL C
    .language_version:
      - 2
      - 0
    .max_flat_workgroup_size: 1024
    .name:           _ZN2at6native12_GLOBAL__N_131replication_pad_backward_kernelIN3c108BFloat16EEEvN5torch10headeronly6detail27GenericPackedTensorAccessorINS7_14TensorAccessorINS3_8ArrayRefIlEET_Lm2ENS6_16DefaultPtrTraitsElEENS_6detail16IndexBoundsCheckILm3ElEESC_Lm3ESD_lEENS8_INS9_ISB_KSC_Lm2ESD_lEESH_SJ_Lm3ESD_lEEiii
    .private_segment_fixed_size: 0
    .sgpr_count:     27
    .sgpr_spill_count: 0
    .symbol:         _ZN2at6native12_GLOBAL__N_131replication_pad_backward_kernelIN3c108BFloat16EEEvN5torch10headeronly6detail27GenericPackedTensorAccessorINS7_14TensorAccessorINS3_8ArrayRefIlEET_Lm2ENS6_16DefaultPtrTraitsElEENS_6detail16IndexBoundsCheckILm3ElEESC_Lm3ESD_lEENS8_INS9_ISB_KSC_Lm2ESD_lEESH_SJ_Lm3ESD_lEEiii.kd
    .uniform_work_group_size: 1
    .uses_dynamic_stack: false
    .vgpr_count:     9
    .vgpr_spill_count: 0
    .wavefront_size: 64
  - .args:
      - .offset:         0
        .size:           72
        .value_kind:     by_value
      - .offset:         72
        .size:           72
        .value_kind:     by_value
      - .offset:         144
        .size:           4
        .value_kind:     by_value
      - .offset:         148
        .size:           4
        .value_kind:     by_value
      - .offset:         152
        .size:           4
        .value_kind:     by_value
      - .offset:         156
        .size:           4
        .value_kind:     by_value
      - .offset:         160
        .size:           4
        .value_kind:     hidden_block_count_x
      - .offset:         164
        .size:           4
        .value_kind:     hidden_block_count_y
      - .offset:         168
        .size:           4
        .value_kind:     hidden_block_count_z
      - .offset:         172
        .size:           2
        .value_kind:     hidden_group_size_x
      - .offset:         174
        .size:           2
        .value_kind:     hidden_group_size_y
      - .offset:         176
        .size:           2
        .value_kind:     hidden_group_size_z
      - .offset:         178
        .size:           2
        .value_kind:     hidden_remainder_x
      - .offset:         180
        .size:           2
        .value_kind:     hidden_remainder_y
      - .offset:         182
        .size:           2
        .value_kind:     hidden_remainder_z
      - .offset:         200
        .size:           8
        .value_kind:     hidden_global_offset_x
      - .offset:         208
        .size:           8
        .value_kind:     hidden_global_offset_y
      - .offset:         216
        .size:           8
        .value_kind:     hidden_global_offset_z
      - .offset:         224
        .size:           2
        .value_kind:     hidden_grid_dims
    .group_segment_fixed_size: 0
    .kernarg_segment_align: 8
    .kernarg_segment_size: 416
    .language:       OpenCL C
    .language_version:
      - 2
      - 0
    .max_flat_workgroup_size: 1024
    .name:           _ZN2at6native12_GLOBAL__N_132replication_pad_forward_kernel2dIhEEvN5torch10headeronly6detail27GenericPackedTensorAccessorINS5_14TensorAccessorIN3c108ArrayRefIlEEKT_Lm3ENS4_16DefaultPtrTraitsElEENS_6detail16IndexBoundsCheckILm4ElEESC_Lm4ESD_lEENS6_INS7_ISA_SB_Lm3ESD_lEESH_SB_Lm4ESD_lEEiiii
    .private_segment_fixed_size: 0
    .sgpr_count:     30
    .sgpr_spill_count: 0
    .symbol:         _ZN2at6native12_GLOBAL__N_132replication_pad_forward_kernel2dIhEEvN5torch10headeronly6detail27GenericPackedTensorAccessorINS5_14TensorAccessorIN3c108ArrayRefIlEEKT_Lm3ENS4_16DefaultPtrTraitsElEENS_6detail16IndexBoundsCheckILm4ElEESC_Lm4ESD_lEENS6_INS7_ISA_SB_Lm3ESD_lEESH_SB_Lm4ESD_lEEiiii.kd
    .uniform_work_group_size: 1
    .uses_dynamic_stack: false
    .vgpr_count:     13
    .vgpr_spill_count: 0
    .wavefront_size: 64
  - .args:
      - .offset:         0
        .size:           72
        .value_kind:     by_value
      - .offset:         72
        .size:           72
        .value_kind:     by_value
      - .offset:         144
        .size:           4
        .value_kind:     by_value
      - .offset:         148
        .size:           4
        .value_kind:     by_value
      - .offset:         152
        .size:           4
        .value_kind:     by_value
      - .offset:         156
        .size:           4
        .value_kind:     by_value
      - .offset:         160
        .size:           4
        .value_kind:     hidden_block_count_x
      - .offset:         164
        .size:           4
        .value_kind:     hidden_block_count_y
      - .offset:         168
        .size:           4
        .value_kind:     hidden_block_count_z
      - .offset:         172
        .size:           2
        .value_kind:     hidden_group_size_x
      - .offset:         174
        .size:           2
        .value_kind:     hidden_group_size_y
      - .offset:         176
        .size:           2
        .value_kind:     hidden_group_size_z
      - .offset:         178
        .size:           2
        .value_kind:     hidden_remainder_x
      - .offset:         180
        .size:           2
        .value_kind:     hidden_remainder_y
      - .offset:         182
        .size:           2
        .value_kind:     hidden_remainder_z
      - .offset:         200
        .size:           8
        .value_kind:     hidden_global_offset_x
      - .offset:         208
        .size:           8
        .value_kind:     hidden_global_offset_y
      - .offset:         216
        .size:           8
        .value_kind:     hidden_global_offset_z
      - .offset:         224
        .size:           2
        .value_kind:     hidden_grid_dims
    .group_segment_fixed_size: 0
    .kernarg_segment_align: 8
    .kernarg_segment_size: 416
    .language:       OpenCL C
    .language_version:
      - 2
      - 0
    .max_flat_workgroup_size: 1024
    .name:           _ZN2at6native12_GLOBAL__N_132replication_pad_forward_kernel2dIaEEvN5torch10headeronly6detail27GenericPackedTensorAccessorINS5_14TensorAccessorIN3c108ArrayRefIlEEKT_Lm3ENS4_16DefaultPtrTraitsElEENS_6detail16IndexBoundsCheckILm4ElEESC_Lm4ESD_lEENS6_INS7_ISA_SB_Lm3ESD_lEESH_SB_Lm4ESD_lEEiiii
    .private_segment_fixed_size: 0
    .sgpr_count:     30
    .sgpr_spill_count: 0
    .symbol:         _ZN2at6native12_GLOBAL__N_132replication_pad_forward_kernel2dIaEEvN5torch10headeronly6detail27GenericPackedTensorAccessorINS5_14TensorAccessorIN3c108ArrayRefIlEEKT_Lm3ENS4_16DefaultPtrTraitsElEENS_6detail16IndexBoundsCheckILm4ElEESC_Lm4ESD_lEENS6_INS7_ISA_SB_Lm3ESD_lEESH_SB_Lm4ESD_lEEiiii.kd
    .uniform_work_group_size: 1
    .uses_dynamic_stack: false
    .vgpr_count:     13
    .vgpr_spill_count: 0
    .wavefront_size: 64
  - .args:
      - .offset:         0
        .size:           72
        .value_kind:     by_value
      - .offset:         72
        .size:           72
        .value_kind:     by_value
      - .offset:         144
        .size:           4
        .value_kind:     by_value
      - .offset:         148
        .size:           4
        .value_kind:     by_value
      - .offset:         152
        .size:           4
        .value_kind:     by_value
      - .offset:         156
        .size:           4
        .value_kind:     by_value
      - .offset:         160
        .size:           4
        .value_kind:     hidden_block_count_x
      - .offset:         164
        .size:           4
        .value_kind:     hidden_block_count_y
      - .offset:         168
        .size:           4
        .value_kind:     hidden_block_count_z
      - .offset:         172
        .size:           2
        .value_kind:     hidden_group_size_x
      - .offset:         174
        .size:           2
        .value_kind:     hidden_group_size_y
      - .offset:         176
        .size:           2
        .value_kind:     hidden_group_size_z
      - .offset:         178
        .size:           2
        .value_kind:     hidden_remainder_x
      - .offset:         180
        .size:           2
        .value_kind:     hidden_remainder_y
      - .offset:         182
        .size:           2
        .value_kind:     hidden_remainder_z
      - .offset:         200
        .size:           8
        .value_kind:     hidden_global_offset_x
      - .offset:         208
        .size:           8
        .value_kind:     hidden_global_offset_y
      - .offset:         216
        .size:           8
        .value_kind:     hidden_global_offset_z
      - .offset:         224
        .size:           2
        .value_kind:     hidden_grid_dims
    .group_segment_fixed_size: 0
    .kernarg_segment_align: 8
    .kernarg_segment_size: 416
    .language:       OpenCL C
    .language_version:
      - 2
      - 0
    .max_flat_workgroup_size: 1024
    .name:           _ZN2at6native12_GLOBAL__N_132replication_pad_forward_kernel2dIiEEvN5torch10headeronly6detail27GenericPackedTensorAccessorINS5_14TensorAccessorIN3c108ArrayRefIlEEKT_Lm3ENS4_16DefaultPtrTraitsElEENS_6detail16IndexBoundsCheckILm4ElEESC_Lm4ESD_lEENS6_INS7_ISA_SB_Lm3ESD_lEESH_SB_Lm4ESD_lEEiiii
    .private_segment_fixed_size: 0
    .sgpr_count:     27
    .sgpr_spill_count: 0
    .symbol:         _ZN2at6native12_GLOBAL__N_132replication_pad_forward_kernel2dIiEEvN5torch10headeronly6detail27GenericPackedTensorAccessorINS5_14TensorAccessorIN3c108ArrayRefIlEEKT_Lm3ENS4_16DefaultPtrTraitsElEENS_6detail16IndexBoundsCheckILm4ElEESC_Lm4ESD_lEENS6_INS7_ISA_SB_Lm3ESD_lEESH_SB_Lm4ESD_lEEiiii.kd
    .uniform_work_group_size: 1
    .uses_dynamic_stack: false
    .vgpr_count:     13
    .vgpr_spill_count: 0
    .wavefront_size: 64
  - .args:
      - .offset:         0
        .size:           72
        .value_kind:     by_value
      - .offset:         72
        .size:           72
        .value_kind:     by_value
      - .offset:         144
        .size:           4
        .value_kind:     by_value
      - .offset:         148
        .size:           4
        .value_kind:     by_value
      - .offset:         152
        .size:           4
        .value_kind:     by_value
      - .offset:         156
        .size:           4
        .value_kind:     by_value
      - .offset:         160
        .size:           4
        .value_kind:     hidden_block_count_x
      - .offset:         164
        .size:           4
        .value_kind:     hidden_block_count_y
      - .offset:         168
        .size:           4
        .value_kind:     hidden_block_count_z
      - .offset:         172
        .size:           2
        .value_kind:     hidden_group_size_x
      - .offset:         174
        .size:           2
        .value_kind:     hidden_group_size_y
      - .offset:         176
        .size:           2
        .value_kind:     hidden_group_size_z
      - .offset:         178
        .size:           2
        .value_kind:     hidden_remainder_x
      - .offset:         180
        .size:           2
        .value_kind:     hidden_remainder_y
      - .offset:         182
        .size:           2
        .value_kind:     hidden_remainder_z
      - .offset:         200
        .size:           8
        .value_kind:     hidden_global_offset_x
      - .offset:         208
        .size:           8
        .value_kind:     hidden_global_offset_y
      - .offset:         216
        .size:           8
        .value_kind:     hidden_global_offset_z
      - .offset:         224
        .size:           2
        .value_kind:     hidden_grid_dims
    .group_segment_fixed_size: 0
    .kernarg_segment_align: 8
    .kernarg_segment_size: 416
    .language:       OpenCL C
    .language_version:
      - 2
      - 0
    .max_flat_workgroup_size: 1024
    .name:           _ZN2at6native12_GLOBAL__N_132replication_pad_forward_kernel2dIlEEvN5torch10headeronly6detail27GenericPackedTensorAccessorINS5_14TensorAccessorIN3c108ArrayRefIlEEKT_Lm3ENS4_16DefaultPtrTraitsElEENS_6detail16IndexBoundsCheckILm4ElEESC_Lm4ESD_lEENS6_INS7_ISA_SB_Lm3ESD_lEESH_SB_Lm4ESD_lEEiiii
    .private_segment_fixed_size: 0
    .sgpr_count:     27
    .sgpr_spill_count: 0
    .symbol:         _ZN2at6native12_GLOBAL__N_132replication_pad_forward_kernel2dIlEEvN5torch10headeronly6detail27GenericPackedTensorAccessorINS5_14TensorAccessorIN3c108ArrayRefIlEEKT_Lm3ENS4_16DefaultPtrTraitsElEENS_6detail16IndexBoundsCheckILm4ElEESC_Lm4ESD_lEENS6_INS7_ISA_SB_Lm3ESD_lEESH_SB_Lm4ESD_lEEiiii.kd
    .uniform_work_group_size: 1
    .uses_dynamic_stack: false
    .vgpr_count:     13
    .vgpr_spill_count: 0
    .wavefront_size: 64
  - .args:
      - .offset:         0
        .size:           72
        .value_kind:     by_value
      - .offset:         72
        .size:           72
        .value_kind:     by_value
      - .offset:         144
        .size:           4
        .value_kind:     by_value
      - .offset:         148
        .size:           4
        .value_kind:     by_value
      - .offset:         152
        .size:           4
        .value_kind:     by_value
      - .offset:         156
        .size:           4
        .value_kind:     by_value
      - .offset:         160
        .size:           4
        .value_kind:     hidden_block_count_x
      - .offset:         164
        .size:           4
        .value_kind:     hidden_block_count_y
      - .offset:         168
        .size:           4
        .value_kind:     hidden_block_count_z
      - .offset:         172
        .size:           2
        .value_kind:     hidden_group_size_x
      - .offset:         174
        .size:           2
        .value_kind:     hidden_group_size_y
      - .offset:         176
        .size:           2
        .value_kind:     hidden_group_size_z
      - .offset:         178
        .size:           2
        .value_kind:     hidden_remainder_x
      - .offset:         180
        .size:           2
        .value_kind:     hidden_remainder_y
      - .offset:         182
        .size:           2
        .value_kind:     hidden_remainder_z
      - .offset:         200
        .size:           8
        .value_kind:     hidden_global_offset_x
      - .offset:         208
        .size:           8
        .value_kind:     hidden_global_offset_y
      - .offset:         216
        .size:           8
        .value_kind:     hidden_global_offset_z
      - .offset:         224
        .size:           2
        .value_kind:     hidden_grid_dims
    .group_segment_fixed_size: 0
    .kernarg_segment_align: 8
    .kernarg_segment_size: 416
    .language:       OpenCL C
    .language_version:
      - 2
      - 0
    .max_flat_workgroup_size: 1024
    .name:           _ZN2at6native12_GLOBAL__N_132replication_pad_forward_kernel2dIsEEvN5torch10headeronly6detail27GenericPackedTensorAccessorINS5_14TensorAccessorIN3c108ArrayRefIlEEKT_Lm3ENS4_16DefaultPtrTraitsElEENS_6detail16IndexBoundsCheckILm4ElEESC_Lm4ESD_lEENS6_INS7_ISA_SB_Lm3ESD_lEESH_SB_Lm4ESD_lEEiiii
    .private_segment_fixed_size: 0
    .sgpr_count:     27
    .sgpr_spill_count: 0
    .symbol:         _ZN2at6native12_GLOBAL__N_132replication_pad_forward_kernel2dIsEEvN5torch10headeronly6detail27GenericPackedTensorAccessorINS5_14TensorAccessorIN3c108ArrayRefIlEEKT_Lm3ENS4_16DefaultPtrTraitsElEENS_6detail16IndexBoundsCheckILm4ElEESC_Lm4ESD_lEENS6_INS7_ISA_SB_Lm3ESD_lEESH_SB_Lm4ESD_lEEiiii.kd
    .uniform_work_group_size: 1
    .uses_dynamic_stack: false
    .vgpr_count:     13
    .vgpr_spill_count: 0
    .wavefront_size: 64
  - .args:
      - .offset:         0
        .size:           72
        .value_kind:     by_value
      - .offset:         72
        .size:           72
        .value_kind:     by_value
      - .offset:         144
        .size:           4
        .value_kind:     by_value
      - .offset:         148
        .size:           4
        .value_kind:     by_value
      - .offset:         152
        .size:           4
        .value_kind:     by_value
      - .offset:         156
        .size:           4
        .value_kind:     by_value
      - .offset:         160
        .size:           4
        .value_kind:     hidden_block_count_x
      - .offset:         164
        .size:           4
        .value_kind:     hidden_block_count_y
      - .offset:         168
        .size:           4
        .value_kind:     hidden_block_count_z
      - .offset:         172
        .size:           2
        .value_kind:     hidden_group_size_x
      - .offset:         174
        .size:           2
        .value_kind:     hidden_group_size_y
      - .offset:         176
        .size:           2
        .value_kind:     hidden_group_size_z
      - .offset:         178
        .size:           2
        .value_kind:     hidden_remainder_x
      - .offset:         180
        .size:           2
        .value_kind:     hidden_remainder_y
      - .offset:         182
        .size:           2
        .value_kind:     hidden_remainder_z
      - .offset:         200
        .size:           8
        .value_kind:     hidden_global_offset_x
      - .offset:         208
        .size:           8
        .value_kind:     hidden_global_offset_y
      - .offset:         216
        .size:           8
        .value_kind:     hidden_global_offset_z
      - .offset:         224
        .size:           2
        .value_kind:     hidden_grid_dims
    .group_segment_fixed_size: 0
    .kernarg_segment_align: 8
    .kernarg_segment_size: 416
    .language:       OpenCL C
    .language_version:
      - 2
      - 0
    .max_flat_workgroup_size: 1024
    .name:           _ZN2at6native12_GLOBAL__N_132replication_pad_forward_kernel2dIdEEvN5torch10headeronly6detail27GenericPackedTensorAccessorINS5_14TensorAccessorIN3c108ArrayRefIlEEKT_Lm3ENS4_16DefaultPtrTraitsElEENS_6detail16IndexBoundsCheckILm4ElEESC_Lm4ESD_lEENS6_INS7_ISA_SB_Lm3ESD_lEESH_SB_Lm4ESD_lEEiiii
    .private_segment_fixed_size: 0
    .sgpr_count:     27
    .sgpr_spill_count: 0
    .symbol:         _ZN2at6native12_GLOBAL__N_132replication_pad_forward_kernel2dIdEEvN5torch10headeronly6detail27GenericPackedTensorAccessorINS5_14TensorAccessorIN3c108ArrayRefIlEEKT_Lm3ENS4_16DefaultPtrTraitsElEENS_6detail16IndexBoundsCheckILm4ElEESC_Lm4ESD_lEENS6_INS7_ISA_SB_Lm3ESD_lEESH_SB_Lm4ESD_lEEiiii.kd
    .uniform_work_group_size: 1
    .uses_dynamic_stack: false
    .vgpr_count:     13
    .vgpr_spill_count: 0
    .wavefront_size: 64
  - .args:
      - .offset:         0
        .size:           72
        .value_kind:     by_value
      - .offset:         72
        .size:           72
        .value_kind:     by_value
      - .offset:         144
        .size:           4
        .value_kind:     by_value
      - .offset:         148
        .size:           4
        .value_kind:     by_value
      - .offset:         152
        .size:           4
        .value_kind:     by_value
      - .offset:         156
        .size:           4
        .value_kind:     by_value
      - .offset:         160
        .size:           4
        .value_kind:     hidden_block_count_x
      - .offset:         164
        .size:           4
        .value_kind:     hidden_block_count_y
      - .offset:         168
        .size:           4
        .value_kind:     hidden_block_count_z
      - .offset:         172
        .size:           2
        .value_kind:     hidden_group_size_x
      - .offset:         174
        .size:           2
        .value_kind:     hidden_group_size_y
      - .offset:         176
        .size:           2
        .value_kind:     hidden_group_size_z
      - .offset:         178
        .size:           2
        .value_kind:     hidden_remainder_x
      - .offset:         180
        .size:           2
        .value_kind:     hidden_remainder_y
      - .offset:         182
        .size:           2
        .value_kind:     hidden_remainder_z
      - .offset:         200
        .size:           8
        .value_kind:     hidden_global_offset_x
      - .offset:         208
        .size:           8
        .value_kind:     hidden_global_offset_y
      - .offset:         216
        .size:           8
        .value_kind:     hidden_global_offset_z
      - .offset:         224
        .size:           2
        .value_kind:     hidden_grid_dims
    .group_segment_fixed_size: 0
    .kernarg_segment_align: 8
    .kernarg_segment_size: 416
    .language:       OpenCL C
    .language_version:
      - 2
      - 0
    .max_flat_workgroup_size: 1024
    .name:           _ZN2at6native12_GLOBAL__N_132replication_pad_forward_kernel2dIfEEvN5torch10headeronly6detail27GenericPackedTensorAccessorINS5_14TensorAccessorIN3c108ArrayRefIlEEKT_Lm3ENS4_16DefaultPtrTraitsElEENS_6detail16IndexBoundsCheckILm4ElEESC_Lm4ESD_lEENS6_INS7_ISA_SB_Lm3ESD_lEESH_SB_Lm4ESD_lEEiiii
    .private_segment_fixed_size: 0
    .sgpr_count:     27
    .sgpr_spill_count: 0
    .symbol:         _ZN2at6native12_GLOBAL__N_132replication_pad_forward_kernel2dIfEEvN5torch10headeronly6detail27GenericPackedTensorAccessorINS5_14TensorAccessorIN3c108ArrayRefIlEEKT_Lm3ENS4_16DefaultPtrTraitsElEENS_6detail16IndexBoundsCheckILm4ElEESC_Lm4ESD_lEENS6_INS7_ISA_SB_Lm3ESD_lEESH_SB_Lm4ESD_lEEiiii.kd
    .uniform_work_group_size: 1
    .uses_dynamic_stack: false
    .vgpr_count:     13
    .vgpr_spill_count: 0
    .wavefront_size: 64
  - .args:
      - .offset:         0
        .size:           72
        .value_kind:     by_value
      - .offset:         72
        .size:           72
        .value_kind:     by_value
      - .offset:         144
        .size:           4
        .value_kind:     by_value
      - .offset:         148
        .size:           4
        .value_kind:     by_value
      - .offset:         152
        .size:           4
        .value_kind:     by_value
      - .offset:         156
        .size:           4
        .value_kind:     by_value
      - .offset:         160
        .size:           4
        .value_kind:     hidden_block_count_x
      - .offset:         164
        .size:           4
        .value_kind:     hidden_block_count_y
      - .offset:         168
        .size:           4
        .value_kind:     hidden_block_count_z
      - .offset:         172
        .size:           2
        .value_kind:     hidden_group_size_x
      - .offset:         174
        .size:           2
        .value_kind:     hidden_group_size_y
      - .offset:         176
        .size:           2
        .value_kind:     hidden_group_size_z
      - .offset:         178
        .size:           2
        .value_kind:     hidden_remainder_x
      - .offset:         180
        .size:           2
        .value_kind:     hidden_remainder_y
      - .offset:         182
        .size:           2
        .value_kind:     hidden_remainder_z
      - .offset:         200
        .size:           8
        .value_kind:     hidden_global_offset_x
      - .offset:         208
        .size:           8
        .value_kind:     hidden_global_offset_y
      - .offset:         216
        .size:           8
        .value_kind:     hidden_global_offset_z
      - .offset:         224
        .size:           2
        .value_kind:     hidden_grid_dims
    .group_segment_fixed_size: 0
    .kernarg_segment_align: 8
    .kernarg_segment_size: 416
    .language:       OpenCL C
    .language_version:
      - 2
      - 0
    .max_flat_workgroup_size: 1024
    .name:           _ZN2at6native12_GLOBAL__N_132replication_pad_forward_kernel2dIN3c107complexIdEEEEvN5torch10headeronly6detail27GenericPackedTensorAccessorINS8_14TensorAccessorINS3_8ArrayRefIlEEKT_Lm3ENS7_16DefaultPtrTraitsElEENS_6detail16IndexBoundsCheckILm4ElEESE_Lm4ESF_lEENS9_INSA_ISC_SD_Lm3ESF_lEESJ_SD_Lm4ESF_lEEiiii
    .private_segment_fixed_size: 0
    .sgpr_count:     27
    .sgpr_spill_count: 0
    .symbol:         _ZN2at6native12_GLOBAL__N_132replication_pad_forward_kernel2dIN3c107complexIdEEEEvN5torch10headeronly6detail27GenericPackedTensorAccessorINS8_14TensorAccessorINS3_8ArrayRefIlEEKT_Lm3ENS7_16DefaultPtrTraitsElEENS_6detail16IndexBoundsCheckILm4ElEESE_Lm4ESF_lEENS9_INSA_ISC_SD_Lm3ESF_lEESJ_SD_Lm4ESF_lEEiiii.kd
    .uniform_work_group_size: 1
    .uses_dynamic_stack: false
    .vgpr_count:     13
    .vgpr_spill_count: 0
    .wavefront_size: 64
  - .args:
      - .offset:         0
        .size:           72
        .value_kind:     by_value
      - .offset:         72
        .size:           72
        .value_kind:     by_value
      - .offset:         144
        .size:           4
        .value_kind:     by_value
      - .offset:         148
        .size:           4
        .value_kind:     by_value
      - .offset:         152
        .size:           4
        .value_kind:     by_value
      - .offset:         156
        .size:           4
        .value_kind:     by_value
      - .offset:         160
        .size:           4
        .value_kind:     hidden_block_count_x
      - .offset:         164
        .size:           4
        .value_kind:     hidden_block_count_y
      - .offset:         168
        .size:           4
        .value_kind:     hidden_block_count_z
      - .offset:         172
        .size:           2
        .value_kind:     hidden_group_size_x
      - .offset:         174
        .size:           2
        .value_kind:     hidden_group_size_y
      - .offset:         176
        .size:           2
        .value_kind:     hidden_group_size_z
      - .offset:         178
        .size:           2
        .value_kind:     hidden_remainder_x
      - .offset:         180
        .size:           2
        .value_kind:     hidden_remainder_y
      - .offset:         182
        .size:           2
        .value_kind:     hidden_remainder_z
      - .offset:         200
        .size:           8
        .value_kind:     hidden_global_offset_x
      - .offset:         208
        .size:           8
        .value_kind:     hidden_global_offset_y
      - .offset:         216
        .size:           8
        .value_kind:     hidden_global_offset_z
      - .offset:         224
        .size:           2
        .value_kind:     hidden_grid_dims
    .group_segment_fixed_size: 0
    .kernarg_segment_align: 8
    .kernarg_segment_size: 416
    .language:       OpenCL C
    .language_version:
      - 2
      - 0
    .max_flat_workgroup_size: 1024
    .name:           _ZN2at6native12_GLOBAL__N_132replication_pad_forward_kernel2dIN3c107complexIfEEEEvN5torch10headeronly6detail27GenericPackedTensorAccessorINS8_14TensorAccessorINS3_8ArrayRefIlEEKT_Lm3ENS7_16DefaultPtrTraitsElEENS_6detail16IndexBoundsCheckILm4ElEESE_Lm4ESF_lEENS9_INSA_ISC_SD_Lm3ESF_lEESJ_SD_Lm4ESF_lEEiiii
    .private_segment_fixed_size: 0
    .sgpr_count:     27
    .sgpr_spill_count: 0
    .symbol:         _ZN2at6native12_GLOBAL__N_132replication_pad_forward_kernel2dIN3c107complexIfEEEEvN5torch10headeronly6detail27GenericPackedTensorAccessorINS8_14TensorAccessorINS3_8ArrayRefIlEEKT_Lm3ENS7_16DefaultPtrTraitsElEENS_6detail16IndexBoundsCheckILm4ElEESE_Lm4ESF_lEENS9_INSA_ISC_SD_Lm3ESF_lEESJ_SD_Lm4ESF_lEEiiii.kd
    .uniform_work_group_size: 1
    .uses_dynamic_stack: false
    .vgpr_count:     13
    .vgpr_spill_count: 0
    .wavefront_size: 64
  - .args:
      - .offset:         0
        .size:           72
        .value_kind:     by_value
      - .offset:         72
        .size:           72
        .value_kind:     by_value
      - .offset:         144
        .size:           4
        .value_kind:     by_value
      - .offset:         148
        .size:           4
        .value_kind:     by_value
      - .offset:         152
        .size:           4
        .value_kind:     by_value
      - .offset:         156
        .size:           4
        .value_kind:     by_value
      - .offset:         160
        .size:           4
        .value_kind:     hidden_block_count_x
      - .offset:         164
        .size:           4
        .value_kind:     hidden_block_count_y
      - .offset:         168
        .size:           4
        .value_kind:     hidden_block_count_z
      - .offset:         172
        .size:           2
        .value_kind:     hidden_group_size_x
      - .offset:         174
        .size:           2
        .value_kind:     hidden_group_size_y
      - .offset:         176
        .size:           2
        .value_kind:     hidden_group_size_z
      - .offset:         178
        .size:           2
        .value_kind:     hidden_remainder_x
      - .offset:         180
        .size:           2
        .value_kind:     hidden_remainder_y
      - .offset:         182
        .size:           2
        .value_kind:     hidden_remainder_z
      - .offset:         200
        .size:           8
        .value_kind:     hidden_global_offset_x
      - .offset:         208
        .size:           8
        .value_kind:     hidden_global_offset_y
      - .offset:         216
        .size:           8
        .value_kind:     hidden_global_offset_z
      - .offset:         224
        .size:           2
        .value_kind:     hidden_grid_dims
    .group_segment_fixed_size: 0
    .kernarg_segment_align: 8
    .kernarg_segment_size: 416
    .language:       OpenCL C
    .language_version:
      - 2
      - 0
    .max_flat_workgroup_size: 1024
    .name:           _ZN2at6native12_GLOBAL__N_132replication_pad_forward_kernel2dIN3c104HalfEEEvN5torch10headeronly6detail27GenericPackedTensorAccessorINS7_14TensorAccessorINS3_8ArrayRefIlEEKT_Lm3ENS6_16DefaultPtrTraitsElEENS_6detail16IndexBoundsCheckILm4ElEESD_Lm4ESE_lEENS8_INS9_ISB_SC_Lm3ESE_lEESI_SC_Lm4ESE_lEEiiii
    .private_segment_fixed_size: 0
    .sgpr_count:     27
    .sgpr_spill_count: 0
    .symbol:         _ZN2at6native12_GLOBAL__N_132replication_pad_forward_kernel2dIN3c104HalfEEEvN5torch10headeronly6detail27GenericPackedTensorAccessorINS7_14TensorAccessorINS3_8ArrayRefIlEEKT_Lm3ENS6_16DefaultPtrTraitsElEENS_6detail16IndexBoundsCheckILm4ElEESD_Lm4ESE_lEENS8_INS9_ISB_SC_Lm3ESE_lEESI_SC_Lm4ESE_lEEiiii.kd
    .uniform_work_group_size: 1
    .uses_dynamic_stack: false
    .vgpr_count:     13
    .vgpr_spill_count: 0
    .wavefront_size: 64
  - .args:
      - .offset:         0
        .size:           72
        .value_kind:     by_value
      - .offset:         72
        .size:           72
        .value_kind:     by_value
      - .offset:         144
        .size:           4
        .value_kind:     by_value
      - .offset:         148
        .size:           4
        .value_kind:     by_value
      - .offset:         152
        .size:           4
        .value_kind:     by_value
      - .offset:         156
        .size:           4
        .value_kind:     by_value
      - .offset:         160
        .size:           4
        .value_kind:     hidden_block_count_x
      - .offset:         164
        .size:           4
        .value_kind:     hidden_block_count_y
      - .offset:         168
        .size:           4
        .value_kind:     hidden_block_count_z
      - .offset:         172
        .size:           2
        .value_kind:     hidden_group_size_x
      - .offset:         174
        .size:           2
        .value_kind:     hidden_group_size_y
      - .offset:         176
        .size:           2
        .value_kind:     hidden_group_size_z
      - .offset:         178
        .size:           2
        .value_kind:     hidden_remainder_x
      - .offset:         180
        .size:           2
        .value_kind:     hidden_remainder_y
      - .offset:         182
        .size:           2
        .value_kind:     hidden_remainder_z
      - .offset:         200
        .size:           8
        .value_kind:     hidden_global_offset_x
      - .offset:         208
        .size:           8
        .value_kind:     hidden_global_offset_y
      - .offset:         216
        .size:           8
        .value_kind:     hidden_global_offset_z
      - .offset:         224
        .size:           2
        .value_kind:     hidden_grid_dims
    .group_segment_fixed_size: 0
    .kernarg_segment_align: 8
    .kernarg_segment_size: 416
    .language:       OpenCL C
    .language_version:
      - 2
      - 0
    .max_flat_workgroup_size: 1024
    .name:           _ZN2at6native12_GLOBAL__N_132replication_pad_forward_kernel2dIN3c108BFloat16EEEvN5torch10headeronly6detail27GenericPackedTensorAccessorINS7_14TensorAccessorINS3_8ArrayRefIlEEKT_Lm3ENS6_16DefaultPtrTraitsElEENS_6detail16IndexBoundsCheckILm4ElEESD_Lm4ESE_lEENS8_INS9_ISB_SC_Lm3ESE_lEESI_SC_Lm4ESE_lEEiiii
    .private_segment_fixed_size: 0
    .sgpr_count:     27
    .sgpr_spill_count: 0
    .symbol:         _ZN2at6native12_GLOBAL__N_132replication_pad_forward_kernel2dIN3c108BFloat16EEEvN5torch10headeronly6detail27GenericPackedTensorAccessorINS7_14TensorAccessorINS3_8ArrayRefIlEEKT_Lm3ENS6_16DefaultPtrTraitsElEENS_6detail16IndexBoundsCheckILm4ElEESD_Lm4ESE_lEENS8_INS9_ISB_SC_Lm3ESE_lEESI_SC_Lm4ESE_lEEiiii.kd
    .uniform_work_group_size: 1
    .uses_dynamic_stack: false
    .vgpr_count:     13
    .vgpr_spill_count: 0
    .wavefront_size: 64
  - .args:
      - .offset:         0
        .size:           88
        .value_kind:     by_value
      - .offset:         88
        .size:           88
        .value_kind:     by_value
      - .offset:         176
        .size:           4
        .value_kind:     by_value
      - .offset:         180
        .size:           4
        .value_kind:     by_value
      - .offset:         184
        .size:           4
        .value_kind:     by_value
      - .offset:         188
        .size:           4
        .value_kind:     by_value
      - .offset:         192
        .size:           4
        .value_kind:     by_value
      - .offset:         200
        .size:           4
        .value_kind:     hidden_block_count_x
      - .offset:         204
        .size:           4
        .value_kind:     hidden_block_count_y
      - .offset:         208
        .size:           4
        .value_kind:     hidden_block_count_z
      - .offset:         212
        .size:           2
        .value_kind:     hidden_group_size_x
      - .offset:         214
        .size:           2
        .value_kind:     hidden_group_size_y
      - .offset:         216
        .size:           2
        .value_kind:     hidden_group_size_z
      - .offset:         218
        .size:           2
        .value_kind:     hidden_remainder_x
      - .offset:         220
        .size:           2
        .value_kind:     hidden_remainder_y
      - .offset:         222
        .size:           2
        .value_kind:     hidden_remainder_z
      - .offset:         240
        .size:           8
        .value_kind:     hidden_global_offset_x
      - .offset:         248
        .size:           8
        .value_kind:     hidden_global_offset_y
      - .offset:         256
        .size:           8
        .value_kind:     hidden_global_offset_z
      - .offset:         264
        .size:           2
        .value_kind:     hidden_grid_dims
    .group_segment_fixed_size: 0
    .kernarg_segment_align: 8
    .kernarg_segment_size: 456
    .language:       OpenCL C
    .language_version:
      - 2
      - 0
    .max_flat_workgroup_size: 1024
    .name:           _ZN2at6native12_GLOBAL__N_132replication_pad_forward_kernel3dIhEEvN5torch10headeronly6detail27GenericPackedTensorAccessorINS5_14TensorAccessorIN3c108ArrayRefIlEEKT_Lm4ENS4_16DefaultPtrTraitsElEENS_6detail16IndexBoundsCheckILm5ElEESC_Lm5ESD_lEENS6_INS7_ISA_SB_Lm4ESD_lEESH_SB_Lm5ESD_lEEiiiii
    .private_segment_fixed_size: 0
    .sgpr_count:     34
    .sgpr_spill_count: 0
    .symbol:         _ZN2at6native12_GLOBAL__N_132replication_pad_forward_kernel3dIhEEvN5torch10headeronly6detail27GenericPackedTensorAccessorINS5_14TensorAccessorIN3c108ArrayRefIlEEKT_Lm4ENS4_16DefaultPtrTraitsElEENS_6detail16IndexBoundsCheckILm5ElEESC_Lm5ESD_lEENS6_INS7_ISA_SB_Lm4ESD_lEESH_SB_Lm5ESD_lEEiiiii.kd
    .uniform_work_group_size: 1
    .uses_dynamic_stack: false
    .vgpr_count:     14
    .vgpr_spill_count: 0
    .wavefront_size: 64
  - .args:
      - .offset:         0
        .size:           88
        .value_kind:     by_value
      - .offset:         88
        .size:           88
        .value_kind:     by_value
      - .offset:         176
        .size:           4
        .value_kind:     by_value
      - .offset:         180
        .size:           4
        .value_kind:     by_value
      - .offset:         184
        .size:           4
        .value_kind:     by_value
      - .offset:         188
        .size:           4
        .value_kind:     by_value
      - .offset:         192
        .size:           4
        .value_kind:     by_value
      - .offset:         200
        .size:           4
        .value_kind:     hidden_block_count_x
      - .offset:         204
        .size:           4
        .value_kind:     hidden_block_count_y
      - .offset:         208
        .size:           4
        .value_kind:     hidden_block_count_z
      - .offset:         212
        .size:           2
        .value_kind:     hidden_group_size_x
      - .offset:         214
        .size:           2
        .value_kind:     hidden_group_size_y
      - .offset:         216
        .size:           2
        .value_kind:     hidden_group_size_z
      - .offset:         218
        .size:           2
        .value_kind:     hidden_remainder_x
      - .offset:         220
        .size:           2
        .value_kind:     hidden_remainder_y
      - .offset:         222
        .size:           2
        .value_kind:     hidden_remainder_z
      - .offset:         240
        .size:           8
        .value_kind:     hidden_global_offset_x
      - .offset:         248
        .size:           8
        .value_kind:     hidden_global_offset_y
      - .offset:         256
        .size:           8
        .value_kind:     hidden_global_offset_z
      - .offset:         264
        .size:           2
        .value_kind:     hidden_grid_dims
    .group_segment_fixed_size: 0
    .kernarg_segment_align: 8
    .kernarg_segment_size: 456
    .language:       OpenCL C
    .language_version:
      - 2
      - 0
    .max_flat_workgroup_size: 1024
    .name:           _ZN2at6native12_GLOBAL__N_132replication_pad_forward_kernel3dIaEEvN5torch10headeronly6detail27GenericPackedTensorAccessorINS5_14TensorAccessorIN3c108ArrayRefIlEEKT_Lm4ENS4_16DefaultPtrTraitsElEENS_6detail16IndexBoundsCheckILm5ElEESC_Lm5ESD_lEENS6_INS7_ISA_SB_Lm4ESD_lEESH_SB_Lm5ESD_lEEiiiii
    .private_segment_fixed_size: 0
    .sgpr_count:     34
    .sgpr_spill_count: 0
    .symbol:         _ZN2at6native12_GLOBAL__N_132replication_pad_forward_kernel3dIaEEvN5torch10headeronly6detail27GenericPackedTensorAccessorINS5_14TensorAccessorIN3c108ArrayRefIlEEKT_Lm4ENS4_16DefaultPtrTraitsElEENS_6detail16IndexBoundsCheckILm5ElEESC_Lm5ESD_lEENS6_INS7_ISA_SB_Lm4ESD_lEESH_SB_Lm5ESD_lEEiiiii.kd
    .uniform_work_group_size: 1
    .uses_dynamic_stack: false
    .vgpr_count:     14
    .vgpr_spill_count: 0
    .wavefront_size: 64
  - .args:
      - .offset:         0
        .size:           88
        .value_kind:     by_value
      - .offset:         88
        .size:           88
        .value_kind:     by_value
      - .offset:         176
        .size:           4
        .value_kind:     by_value
      - .offset:         180
        .size:           4
        .value_kind:     by_value
      - .offset:         184
        .size:           4
        .value_kind:     by_value
      - .offset:         188
        .size:           4
        .value_kind:     by_value
      - .offset:         192
        .size:           4
        .value_kind:     by_value
      - .offset:         200
        .size:           4
        .value_kind:     hidden_block_count_x
      - .offset:         204
        .size:           4
        .value_kind:     hidden_block_count_y
      - .offset:         208
        .size:           4
        .value_kind:     hidden_block_count_z
      - .offset:         212
        .size:           2
        .value_kind:     hidden_group_size_x
      - .offset:         214
        .size:           2
        .value_kind:     hidden_group_size_y
      - .offset:         216
        .size:           2
        .value_kind:     hidden_group_size_z
      - .offset:         218
        .size:           2
        .value_kind:     hidden_remainder_x
      - .offset:         220
        .size:           2
        .value_kind:     hidden_remainder_y
      - .offset:         222
        .size:           2
        .value_kind:     hidden_remainder_z
      - .offset:         240
        .size:           8
        .value_kind:     hidden_global_offset_x
      - .offset:         248
        .size:           8
        .value_kind:     hidden_global_offset_y
      - .offset:         256
        .size:           8
        .value_kind:     hidden_global_offset_z
      - .offset:         264
        .size:           2
        .value_kind:     hidden_grid_dims
    .group_segment_fixed_size: 0
    .kernarg_segment_align: 8
    .kernarg_segment_size: 456
    .language:       OpenCL C
    .language_version:
      - 2
      - 0
    .max_flat_workgroup_size: 1024
    .name:           _ZN2at6native12_GLOBAL__N_132replication_pad_forward_kernel3dIiEEvN5torch10headeronly6detail27GenericPackedTensorAccessorINS5_14TensorAccessorIN3c108ArrayRefIlEEKT_Lm4ENS4_16DefaultPtrTraitsElEENS_6detail16IndexBoundsCheckILm5ElEESC_Lm5ESD_lEENS6_INS7_ISA_SB_Lm4ESD_lEESH_SB_Lm5ESD_lEEiiiii
    .private_segment_fixed_size: 0
    .sgpr_count:     35
    .sgpr_spill_count: 0
    .symbol:         _ZN2at6native12_GLOBAL__N_132replication_pad_forward_kernel3dIiEEvN5torch10headeronly6detail27GenericPackedTensorAccessorINS5_14TensorAccessorIN3c108ArrayRefIlEEKT_Lm4ENS4_16DefaultPtrTraitsElEENS_6detail16IndexBoundsCheckILm5ElEESC_Lm5ESD_lEENS6_INS7_ISA_SB_Lm4ESD_lEESH_SB_Lm5ESD_lEEiiiii.kd
    .uniform_work_group_size: 1
    .uses_dynamic_stack: false
    .vgpr_count:     14
    .vgpr_spill_count: 0
    .wavefront_size: 64
  - .args:
      - .offset:         0
        .size:           88
        .value_kind:     by_value
      - .offset:         88
        .size:           88
        .value_kind:     by_value
      - .offset:         176
        .size:           4
        .value_kind:     by_value
      - .offset:         180
        .size:           4
        .value_kind:     by_value
      - .offset:         184
        .size:           4
        .value_kind:     by_value
      - .offset:         188
        .size:           4
        .value_kind:     by_value
      - .offset:         192
        .size:           4
        .value_kind:     by_value
      - .offset:         200
        .size:           4
        .value_kind:     hidden_block_count_x
      - .offset:         204
        .size:           4
        .value_kind:     hidden_block_count_y
      - .offset:         208
        .size:           4
        .value_kind:     hidden_block_count_z
      - .offset:         212
        .size:           2
        .value_kind:     hidden_group_size_x
      - .offset:         214
        .size:           2
        .value_kind:     hidden_group_size_y
      - .offset:         216
        .size:           2
        .value_kind:     hidden_group_size_z
      - .offset:         218
        .size:           2
        .value_kind:     hidden_remainder_x
      - .offset:         220
        .size:           2
        .value_kind:     hidden_remainder_y
      - .offset:         222
        .size:           2
        .value_kind:     hidden_remainder_z
      - .offset:         240
        .size:           8
        .value_kind:     hidden_global_offset_x
      - .offset:         248
        .size:           8
        .value_kind:     hidden_global_offset_y
      - .offset:         256
        .size:           8
        .value_kind:     hidden_global_offset_z
      - .offset:         264
        .size:           2
        .value_kind:     hidden_grid_dims
    .group_segment_fixed_size: 0
    .kernarg_segment_align: 8
    .kernarg_segment_size: 456
    .language:       OpenCL C
    .language_version:
      - 2
      - 0
    .max_flat_workgroup_size: 1024
    .name:           _ZN2at6native12_GLOBAL__N_132replication_pad_forward_kernel3dIlEEvN5torch10headeronly6detail27GenericPackedTensorAccessorINS5_14TensorAccessorIN3c108ArrayRefIlEEKT_Lm4ENS4_16DefaultPtrTraitsElEENS_6detail16IndexBoundsCheckILm5ElEESC_Lm5ESD_lEENS6_INS7_ISA_SB_Lm4ESD_lEESH_SB_Lm5ESD_lEEiiiii
    .private_segment_fixed_size: 0
    .sgpr_count:     35
    .sgpr_spill_count: 0
    .symbol:         _ZN2at6native12_GLOBAL__N_132replication_pad_forward_kernel3dIlEEvN5torch10headeronly6detail27GenericPackedTensorAccessorINS5_14TensorAccessorIN3c108ArrayRefIlEEKT_Lm4ENS4_16DefaultPtrTraitsElEENS_6detail16IndexBoundsCheckILm5ElEESC_Lm5ESD_lEENS6_INS7_ISA_SB_Lm4ESD_lEESH_SB_Lm5ESD_lEEiiiii.kd
    .uniform_work_group_size: 1
    .uses_dynamic_stack: false
    .vgpr_count:     14
    .vgpr_spill_count: 0
    .wavefront_size: 64
  - .args:
      - .offset:         0
        .size:           88
        .value_kind:     by_value
      - .offset:         88
        .size:           88
        .value_kind:     by_value
      - .offset:         176
        .size:           4
        .value_kind:     by_value
      - .offset:         180
        .size:           4
        .value_kind:     by_value
      - .offset:         184
        .size:           4
        .value_kind:     by_value
      - .offset:         188
        .size:           4
        .value_kind:     by_value
      - .offset:         192
        .size:           4
        .value_kind:     by_value
      - .offset:         200
        .size:           4
        .value_kind:     hidden_block_count_x
      - .offset:         204
        .size:           4
        .value_kind:     hidden_block_count_y
      - .offset:         208
        .size:           4
        .value_kind:     hidden_block_count_z
      - .offset:         212
        .size:           2
        .value_kind:     hidden_group_size_x
      - .offset:         214
        .size:           2
        .value_kind:     hidden_group_size_y
      - .offset:         216
        .size:           2
        .value_kind:     hidden_group_size_z
      - .offset:         218
        .size:           2
        .value_kind:     hidden_remainder_x
      - .offset:         220
        .size:           2
        .value_kind:     hidden_remainder_y
      - .offset:         222
        .size:           2
        .value_kind:     hidden_remainder_z
      - .offset:         240
        .size:           8
        .value_kind:     hidden_global_offset_x
      - .offset:         248
        .size:           8
        .value_kind:     hidden_global_offset_y
      - .offset:         256
        .size:           8
        .value_kind:     hidden_global_offset_z
      - .offset:         264
        .size:           2
        .value_kind:     hidden_grid_dims
    .group_segment_fixed_size: 0
    .kernarg_segment_align: 8
    .kernarg_segment_size: 456
    .language:       OpenCL C
    .language_version:
      - 2
      - 0
    .max_flat_workgroup_size: 1024
    .name:           _ZN2at6native12_GLOBAL__N_132replication_pad_forward_kernel3dIsEEvN5torch10headeronly6detail27GenericPackedTensorAccessorINS5_14TensorAccessorIN3c108ArrayRefIlEEKT_Lm4ENS4_16DefaultPtrTraitsElEENS_6detail16IndexBoundsCheckILm5ElEESC_Lm5ESD_lEENS6_INS7_ISA_SB_Lm4ESD_lEESH_SB_Lm5ESD_lEEiiiii
    .private_segment_fixed_size: 0
    .sgpr_count:     35
    .sgpr_spill_count: 0
    .symbol:         _ZN2at6native12_GLOBAL__N_132replication_pad_forward_kernel3dIsEEvN5torch10headeronly6detail27GenericPackedTensorAccessorINS5_14TensorAccessorIN3c108ArrayRefIlEEKT_Lm4ENS4_16DefaultPtrTraitsElEENS_6detail16IndexBoundsCheckILm5ElEESC_Lm5ESD_lEENS6_INS7_ISA_SB_Lm4ESD_lEESH_SB_Lm5ESD_lEEiiiii.kd
    .uniform_work_group_size: 1
    .uses_dynamic_stack: false
    .vgpr_count:     14
    .vgpr_spill_count: 0
    .wavefront_size: 64
  - .args:
      - .offset:         0
        .size:           88
        .value_kind:     by_value
      - .offset:         88
        .size:           88
        .value_kind:     by_value
      - .offset:         176
        .size:           4
        .value_kind:     by_value
      - .offset:         180
        .size:           4
        .value_kind:     by_value
      - .offset:         184
        .size:           4
        .value_kind:     by_value
      - .offset:         188
        .size:           4
        .value_kind:     by_value
      - .offset:         192
        .size:           4
        .value_kind:     by_value
      - .offset:         200
        .size:           4
        .value_kind:     hidden_block_count_x
      - .offset:         204
        .size:           4
        .value_kind:     hidden_block_count_y
      - .offset:         208
        .size:           4
        .value_kind:     hidden_block_count_z
      - .offset:         212
        .size:           2
        .value_kind:     hidden_group_size_x
      - .offset:         214
        .size:           2
        .value_kind:     hidden_group_size_y
      - .offset:         216
        .size:           2
        .value_kind:     hidden_group_size_z
      - .offset:         218
        .size:           2
        .value_kind:     hidden_remainder_x
      - .offset:         220
        .size:           2
        .value_kind:     hidden_remainder_y
      - .offset:         222
        .size:           2
        .value_kind:     hidden_remainder_z
      - .offset:         240
        .size:           8
        .value_kind:     hidden_global_offset_x
      - .offset:         248
        .size:           8
        .value_kind:     hidden_global_offset_y
      - .offset:         256
        .size:           8
        .value_kind:     hidden_global_offset_z
      - .offset:         264
        .size:           2
        .value_kind:     hidden_grid_dims
    .group_segment_fixed_size: 0
    .kernarg_segment_align: 8
    .kernarg_segment_size: 456
    .language:       OpenCL C
    .language_version:
      - 2
      - 0
    .max_flat_workgroup_size: 1024
    .name:           _ZN2at6native12_GLOBAL__N_132replication_pad_forward_kernel3dIdEEvN5torch10headeronly6detail27GenericPackedTensorAccessorINS5_14TensorAccessorIN3c108ArrayRefIlEEKT_Lm4ENS4_16DefaultPtrTraitsElEENS_6detail16IndexBoundsCheckILm5ElEESC_Lm5ESD_lEENS6_INS7_ISA_SB_Lm4ESD_lEESH_SB_Lm5ESD_lEEiiiii
    .private_segment_fixed_size: 0
    .sgpr_count:     35
    .sgpr_spill_count: 0
    .symbol:         _ZN2at6native12_GLOBAL__N_132replication_pad_forward_kernel3dIdEEvN5torch10headeronly6detail27GenericPackedTensorAccessorINS5_14TensorAccessorIN3c108ArrayRefIlEEKT_Lm4ENS4_16DefaultPtrTraitsElEENS_6detail16IndexBoundsCheckILm5ElEESC_Lm5ESD_lEENS6_INS7_ISA_SB_Lm4ESD_lEESH_SB_Lm5ESD_lEEiiiii.kd
    .uniform_work_group_size: 1
    .uses_dynamic_stack: false
    .vgpr_count:     14
    .vgpr_spill_count: 0
    .wavefront_size: 64
  - .args:
      - .offset:         0
        .size:           88
        .value_kind:     by_value
      - .offset:         88
        .size:           88
        .value_kind:     by_value
      - .offset:         176
        .size:           4
        .value_kind:     by_value
      - .offset:         180
        .size:           4
        .value_kind:     by_value
      - .offset:         184
        .size:           4
        .value_kind:     by_value
      - .offset:         188
        .size:           4
        .value_kind:     by_value
      - .offset:         192
        .size:           4
        .value_kind:     by_value
      - .offset:         200
        .size:           4
        .value_kind:     hidden_block_count_x
      - .offset:         204
        .size:           4
        .value_kind:     hidden_block_count_y
      - .offset:         208
        .size:           4
        .value_kind:     hidden_block_count_z
      - .offset:         212
        .size:           2
        .value_kind:     hidden_group_size_x
      - .offset:         214
        .size:           2
        .value_kind:     hidden_group_size_y
      - .offset:         216
        .size:           2
        .value_kind:     hidden_group_size_z
      - .offset:         218
        .size:           2
        .value_kind:     hidden_remainder_x
      - .offset:         220
        .size:           2
        .value_kind:     hidden_remainder_y
      - .offset:         222
        .size:           2
        .value_kind:     hidden_remainder_z
      - .offset:         240
        .size:           8
        .value_kind:     hidden_global_offset_x
      - .offset:         248
        .size:           8
        .value_kind:     hidden_global_offset_y
      - .offset:         256
        .size:           8
        .value_kind:     hidden_global_offset_z
      - .offset:         264
        .size:           2
        .value_kind:     hidden_grid_dims
    .group_segment_fixed_size: 0
    .kernarg_segment_align: 8
    .kernarg_segment_size: 456
    .language:       OpenCL C
    .language_version:
      - 2
      - 0
    .max_flat_workgroup_size: 1024
    .name:           _ZN2at6native12_GLOBAL__N_132replication_pad_forward_kernel3dIfEEvN5torch10headeronly6detail27GenericPackedTensorAccessorINS5_14TensorAccessorIN3c108ArrayRefIlEEKT_Lm4ENS4_16DefaultPtrTraitsElEENS_6detail16IndexBoundsCheckILm5ElEESC_Lm5ESD_lEENS6_INS7_ISA_SB_Lm4ESD_lEESH_SB_Lm5ESD_lEEiiiii
    .private_segment_fixed_size: 0
    .sgpr_count:     35
    .sgpr_spill_count: 0
    .symbol:         _ZN2at6native12_GLOBAL__N_132replication_pad_forward_kernel3dIfEEvN5torch10headeronly6detail27GenericPackedTensorAccessorINS5_14TensorAccessorIN3c108ArrayRefIlEEKT_Lm4ENS4_16DefaultPtrTraitsElEENS_6detail16IndexBoundsCheckILm5ElEESC_Lm5ESD_lEENS6_INS7_ISA_SB_Lm4ESD_lEESH_SB_Lm5ESD_lEEiiiii.kd
    .uniform_work_group_size: 1
    .uses_dynamic_stack: false
    .vgpr_count:     14
    .vgpr_spill_count: 0
    .wavefront_size: 64
  - .args:
      - .offset:         0
        .size:           88
        .value_kind:     by_value
      - .offset:         88
        .size:           88
        .value_kind:     by_value
      - .offset:         176
        .size:           4
        .value_kind:     by_value
      - .offset:         180
        .size:           4
        .value_kind:     by_value
      - .offset:         184
        .size:           4
        .value_kind:     by_value
      - .offset:         188
        .size:           4
        .value_kind:     by_value
      - .offset:         192
        .size:           4
        .value_kind:     by_value
      - .offset:         200
        .size:           4
        .value_kind:     hidden_block_count_x
      - .offset:         204
        .size:           4
        .value_kind:     hidden_block_count_y
      - .offset:         208
        .size:           4
        .value_kind:     hidden_block_count_z
      - .offset:         212
        .size:           2
        .value_kind:     hidden_group_size_x
      - .offset:         214
        .size:           2
        .value_kind:     hidden_group_size_y
      - .offset:         216
        .size:           2
        .value_kind:     hidden_group_size_z
      - .offset:         218
        .size:           2
        .value_kind:     hidden_remainder_x
      - .offset:         220
        .size:           2
        .value_kind:     hidden_remainder_y
      - .offset:         222
        .size:           2
        .value_kind:     hidden_remainder_z
      - .offset:         240
        .size:           8
        .value_kind:     hidden_global_offset_x
      - .offset:         248
        .size:           8
        .value_kind:     hidden_global_offset_y
      - .offset:         256
        .size:           8
        .value_kind:     hidden_global_offset_z
      - .offset:         264
        .size:           2
        .value_kind:     hidden_grid_dims
    .group_segment_fixed_size: 0
    .kernarg_segment_align: 8
    .kernarg_segment_size: 456
    .language:       OpenCL C
    .language_version:
      - 2
      - 0
    .max_flat_workgroup_size: 1024
    .name:           _ZN2at6native12_GLOBAL__N_132replication_pad_forward_kernel3dIN3c107complexIdEEEEvN5torch10headeronly6detail27GenericPackedTensorAccessorINS8_14TensorAccessorINS3_8ArrayRefIlEEKT_Lm4ENS7_16DefaultPtrTraitsElEENS_6detail16IndexBoundsCheckILm5ElEESE_Lm5ESF_lEENS9_INSA_ISC_SD_Lm4ESF_lEESJ_SD_Lm5ESF_lEEiiiii
    .private_segment_fixed_size: 0
    .sgpr_count:     35
    .sgpr_spill_count: 0
    .symbol:         _ZN2at6native12_GLOBAL__N_132replication_pad_forward_kernel3dIN3c107complexIdEEEEvN5torch10headeronly6detail27GenericPackedTensorAccessorINS8_14TensorAccessorINS3_8ArrayRefIlEEKT_Lm4ENS7_16DefaultPtrTraitsElEENS_6detail16IndexBoundsCheckILm5ElEESE_Lm5ESF_lEENS9_INSA_ISC_SD_Lm4ESF_lEESJ_SD_Lm5ESF_lEEiiiii.kd
    .uniform_work_group_size: 1
    .uses_dynamic_stack: false
    .vgpr_count:     15
    .vgpr_spill_count: 0
    .wavefront_size: 64
  - .args:
      - .offset:         0
        .size:           88
        .value_kind:     by_value
      - .offset:         88
        .size:           88
        .value_kind:     by_value
      - .offset:         176
        .size:           4
        .value_kind:     by_value
      - .offset:         180
        .size:           4
        .value_kind:     by_value
      - .offset:         184
        .size:           4
        .value_kind:     by_value
      - .offset:         188
        .size:           4
        .value_kind:     by_value
      - .offset:         192
        .size:           4
        .value_kind:     by_value
      - .offset:         200
        .size:           4
        .value_kind:     hidden_block_count_x
      - .offset:         204
        .size:           4
        .value_kind:     hidden_block_count_y
      - .offset:         208
        .size:           4
        .value_kind:     hidden_block_count_z
      - .offset:         212
        .size:           2
        .value_kind:     hidden_group_size_x
      - .offset:         214
        .size:           2
        .value_kind:     hidden_group_size_y
      - .offset:         216
        .size:           2
        .value_kind:     hidden_group_size_z
      - .offset:         218
        .size:           2
        .value_kind:     hidden_remainder_x
      - .offset:         220
        .size:           2
        .value_kind:     hidden_remainder_y
      - .offset:         222
        .size:           2
        .value_kind:     hidden_remainder_z
      - .offset:         240
        .size:           8
        .value_kind:     hidden_global_offset_x
      - .offset:         248
        .size:           8
        .value_kind:     hidden_global_offset_y
      - .offset:         256
        .size:           8
        .value_kind:     hidden_global_offset_z
      - .offset:         264
        .size:           2
        .value_kind:     hidden_grid_dims
    .group_segment_fixed_size: 0
    .kernarg_segment_align: 8
    .kernarg_segment_size: 456
    .language:       OpenCL C
    .language_version:
      - 2
      - 0
    .max_flat_workgroup_size: 1024
    .name:           _ZN2at6native12_GLOBAL__N_132replication_pad_forward_kernel3dIN3c107complexIfEEEEvN5torch10headeronly6detail27GenericPackedTensorAccessorINS8_14TensorAccessorINS3_8ArrayRefIlEEKT_Lm4ENS7_16DefaultPtrTraitsElEENS_6detail16IndexBoundsCheckILm5ElEESE_Lm5ESF_lEENS9_INSA_ISC_SD_Lm4ESF_lEESJ_SD_Lm5ESF_lEEiiiii
    .private_segment_fixed_size: 0
    .sgpr_count:     35
    .sgpr_spill_count: 0
    .symbol:         _ZN2at6native12_GLOBAL__N_132replication_pad_forward_kernel3dIN3c107complexIfEEEEvN5torch10headeronly6detail27GenericPackedTensorAccessorINS8_14TensorAccessorINS3_8ArrayRefIlEEKT_Lm4ENS7_16DefaultPtrTraitsElEENS_6detail16IndexBoundsCheckILm5ElEESE_Lm5ESF_lEENS9_INSA_ISC_SD_Lm4ESF_lEESJ_SD_Lm5ESF_lEEiiiii.kd
    .uniform_work_group_size: 1
    .uses_dynamic_stack: false
    .vgpr_count:     14
    .vgpr_spill_count: 0
    .wavefront_size: 64
  - .args:
      - .offset:         0
        .size:           88
        .value_kind:     by_value
      - .offset:         88
        .size:           88
        .value_kind:     by_value
      - .offset:         176
        .size:           4
        .value_kind:     by_value
      - .offset:         180
        .size:           4
        .value_kind:     by_value
      - .offset:         184
        .size:           4
        .value_kind:     by_value
      - .offset:         188
        .size:           4
        .value_kind:     by_value
      - .offset:         192
        .size:           4
        .value_kind:     by_value
      - .offset:         200
        .size:           4
        .value_kind:     hidden_block_count_x
      - .offset:         204
        .size:           4
        .value_kind:     hidden_block_count_y
      - .offset:         208
        .size:           4
        .value_kind:     hidden_block_count_z
      - .offset:         212
        .size:           2
        .value_kind:     hidden_group_size_x
      - .offset:         214
        .size:           2
        .value_kind:     hidden_group_size_y
      - .offset:         216
        .size:           2
        .value_kind:     hidden_group_size_z
      - .offset:         218
        .size:           2
        .value_kind:     hidden_remainder_x
      - .offset:         220
        .size:           2
        .value_kind:     hidden_remainder_y
      - .offset:         222
        .size:           2
        .value_kind:     hidden_remainder_z
      - .offset:         240
        .size:           8
        .value_kind:     hidden_global_offset_x
      - .offset:         248
        .size:           8
        .value_kind:     hidden_global_offset_y
      - .offset:         256
        .size:           8
        .value_kind:     hidden_global_offset_z
      - .offset:         264
        .size:           2
        .value_kind:     hidden_grid_dims
    .group_segment_fixed_size: 0
    .kernarg_segment_align: 8
    .kernarg_segment_size: 456
    .language:       OpenCL C
    .language_version:
      - 2
      - 0
    .max_flat_workgroup_size: 1024
    .name:           _ZN2at6native12_GLOBAL__N_132replication_pad_forward_kernel3dIN3c104HalfEEEvN5torch10headeronly6detail27GenericPackedTensorAccessorINS7_14TensorAccessorINS3_8ArrayRefIlEEKT_Lm4ENS6_16DefaultPtrTraitsElEENS_6detail16IndexBoundsCheckILm5ElEESD_Lm5ESE_lEENS8_INS9_ISB_SC_Lm4ESE_lEESI_SC_Lm5ESE_lEEiiiii
    .private_segment_fixed_size: 0
    .sgpr_count:     35
    .sgpr_spill_count: 0
    .symbol:         _ZN2at6native12_GLOBAL__N_132replication_pad_forward_kernel3dIN3c104HalfEEEvN5torch10headeronly6detail27GenericPackedTensorAccessorINS7_14TensorAccessorINS3_8ArrayRefIlEEKT_Lm4ENS6_16DefaultPtrTraitsElEENS_6detail16IndexBoundsCheckILm5ElEESD_Lm5ESE_lEENS8_INS9_ISB_SC_Lm4ESE_lEESI_SC_Lm5ESE_lEEiiiii.kd
    .uniform_work_group_size: 1
    .uses_dynamic_stack: false
    .vgpr_count:     14
    .vgpr_spill_count: 0
    .wavefront_size: 64
  - .args:
      - .offset:         0
        .size:           88
        .value_kind:     by_value
      - .offset:         88
        .size:           88
        .value_kind:     by_value
      - .offset:         176
        .size:           4
        .value_kind:     by_value
      - .offset:         180
        .size:           4
        .value_kind:     by_value
      - .offset:         184
        .size:           4
        .value_kind:     by_value
      - .offset:         188
        .size:           4
        .value_kind:     by_value
      - .offset:         192
        .size:           4
        .value_kind:     by_value
      - .offset:         200
        .size:           4
        .value_kind:     hidden_block_count_x
      - .offset:         204
        .size:           4
        .value_kind:     hidden_block_count_y
      - .offset:         208
        .size:           4
        .value_kind:     hidden_block_count_z
      - .offset:         212
        .size:           2
        .value_kind:     hidden_group_size_x
      - .offset:         214
        .size:           2
        .value_kind:     hidden_group_size_y
      - .offset:         216
        .size:           2
        .value_kind:     hidden_group_size_z
      - .offset:         218
        .size:           2
        .value_kind:     hidden_remainder_x
      - .offset:         220
        .size:           2
        .value_kind:     hidden_remainder_y
      - .offset:         222
        .size:           2
        .value_kind:     hidden_remainder_z
      - .offset:         240
        .size:           8
        .value_kind:     hidden_global_offset_x
      - .offset:         248
        .size:           8
        .value_kind:     hidden_global_offset_y
      - .offset:         256
        .size:           8
        .value_kind:     hidden_global_offset_z
      - .offset:         264
        .size:           2
        .value_kind:     hidden_grid_dims
    .group_segment_fixed_size: 0
    .kernarg_segment_align: 8
    .kernarg_segment_size: 456
    .language:       OpenCL C
    .language_version:
      - 2
      - 0
    .max_flat_workgroup_size: 1024
    .name:           _ZN2at6native12_GLOBAL__N_132replication_pad_forward_kernel3dIN3c108BFloat16EEEvN5torch10headeronly6detail27GenericPackedTensorAccessorINS7_14TensorAccessorINS3_8ArrayRefIlEEKT_Lm4ENS6_16DefaultPtrTraitsElEENS_6detail16IndexBoundsCheckILm5ElEESD_Lm5ESE_lEENS8_INS9_ISB_SC_Lm4ESE_lEESI_SC_Lm5ESE_lEEiiiii
    .private_segment_fixed_size: 0
    .sgpr_count:     35
    .sgpr_spill_count: 0
    .symbol:         _ZN2at6native12_GLOBAL__N_132replication_pad_forward_kernel3dIN3c108BFloat16EEEvN5torch10headeronly6detail27GenericPackedTensorAccessorINS7_14TensorAccessorINS3_8ArrayRefIlEEKT_Lm4ENS6_16DefaultPtrTraitsElEENS_6detail16IndexBoundsCheckILm5ElEESD_Lm5ESE_lEENS8_INS9_ISB_SC_Lm4ESE_lEESI_SC_Lm5ESE_lEEiiiii.kd
    .uniform_work_group_size: 1
    .uses_dynamic_stack: false
    .vgpr_count:     14
    .vgpr_spill_count: 0
    .wavefront_size: 64
amdhsa.target:   amdgcn-amd-amdhsa--gfx906
amdhsa.version:
  - 1
  - 2
...

	.end_amdgpu_metadata
